;; amdgpu-corpus repo=ROCm/rocFFT kind=compiled arch=gfx906 opt=O3
	.text
	.amdgcn_target "amdgcn-amd-amdhsa--gfx906"
	.amdhsa_code_object_version 6
	.protected	bluestein_single_fwd_len3456_dim1_half_op_CI_CI ; -- Begin function bluestein_single_fwd_len3456_dim1_half_op_CI_CI
	.globl	bluestein_single_fwd_len3456_dim1_half_op_CI_CI
	.p2align	8
	.type	bluestein_single_fwd_len3456_dim1_half_op_CI_CI,@function
bluestein_single_fwd_len3456_dim1_half_op_CI_CI: ; @bluestein_single_fwd_len3456_dim1_half_op_CI_CI
; %bb.0:
	s_load_dwordx4 s[16:19], s[4:5], 0x28
	v_mul_u32_u24_e32 v1, 0x1c8, v0
	v_add_u32_sdwa v68, s6, v1 dst_sel:DWORD dst_unused:UNUSED_PAD src0_sel:DWORD src1_sel:WORD_1
	v_mov_b32_e32 v69, 0
	s_waitcnt lgkmcnt(0)
	v_cmp_gt_u64_e32 vcc, s[16:17], v[68:69]
	s_and_saveexec_b64 s[0:1], vcc
	s_cbranch_execz .LBB0_2
; %bb.1:
	s_load_dwordx4 s[8:11], s[4:5], 0x18
	s_load_dwordx4 s[0:3], s[4:5], 0x0
	s_movk_i32 s16, 0x90
	v_mul_lo_u16_sdwa v1, v1, s16 dst_sel:DWORD dst_unused:UNUSED_PAD src0_sel:WORD_1 src1_sel:DWORD
	v_sub_u16_e32 v97, v0, v1
	s_waitcnt lgkmcnt(0)
	s_load_dwordx4 s[12:15], s[8:9], 0x0
	v_lshlrev_b32_e32 v100, 2, v97
	global_load_dword v99, v100, s[0:1]
	v_or_b32_e32 v94, 0x900, v97
	v_lshlrev_b32_e32 v109, 2, v94
	s_waitcnt lgkmcnt(0)
	v_mad_u64_u32 v[0:1], s[6:7], s14, v68, 0
	v_mad_u64_u32 v[2:3], s[6:7], s12, v97, 0
	s_mul_i32 s8, s13, 0x900
	s_mul_hi_u32 s17, s12, 0x900
	v_mad_u64_u32 v[4:5], s[6:7], s15, v68, v[1:2]
	s_movk_i32 s14, 0x1000
	s_movk_i32 s15, 0x2000
	v_mad_u64_u32 v[5:6], s[6:7], s13, v97, v[3:4]
	v_mov_b32_e32 v1, v4
	v_lshlrev_b64 v[0:1], 2, v[0:1]
	v_mov_b32_e32 v6, s19
	v_mov_b32_e32 v3, v5
	v_add_co_u32_e32 v10, vcc, s18, v0
	v_addc_co_u32_e32 v11, vcc, v6, v1, vcc
	v_lshlrev_b64 v[0:1], 2, v[2:3]
	s_add_u32 s6, s0, 0x3600
	v_add_co_u32_e32 v0, vcc, v10, v0
	v_addc_co_u32_e32 v1, vcc, v11, v1, vcc
	global_load_dword v12, v[0:1], off
	s_addc_u32 s7, s1, 0
	s_add_i32 s17, s17, s8
	s_mul_i32 s18, s12, 0x900
	v_mov_b32_e32 v2, s17
	v_add_co_u32_e32 v0, vcc, s18, v0
	v_addc_co_u32_e32 v1, vcc, v1, v2, vcc
	global_load_dword v13, v[0:1], off
	s_load_dwordx4 s[8:11], s[10:11], 0x0
	global_load_dword v95, v109, s[0:1]
	global_load_dword v90, v100, s[0:1] offset:576
	global_load_dword v79, v100, s[0:1] offset:1152
	;; [unrolled: 1-line block ×7, first 2 shown]
	v_mov_b32_e32 v2, s1
	v_add_co_u32_e32 v14, vcc, s0, v100
	v_addc_co_u32_e32 v15, vcc, 0, v2, vcc
	v_add_co_u32_e32 v2, vcc, s14, v14
	v_mad_u64_u32 v[4:5], s[0:1], s12, v94, 0
	v_addc_co_u32_e32 v3, vcc, 0, v15, vcc
	v_add_co_u32_e32 v6, vcc, s15, v14
	v_addc_co_u32_e32 v7, vcc, 0, v15, vcc
	v_mov_b32_e32 v16, s17
	v_mad_u64_u32 v[8:9], s[0:1], s13, v94, v[5:6]
	v_add_co_u32_e32 v0, vcc, s18, v0
	v_addc_co_u32_e32 v1, vcc, v1, v16, vcc
	global_load_dword v9, v[0:1], off
	global_load_dword v101, v[2:3], off offset:512
	global_load_dword v98, v[2:3], off offset:2816
	v_add_co_u32_e32 v0, vcc, s18, v0
	v_addc_co_u32_e32 v1, vcc, v1, v16, vcc
	v_mov_b32_e32 v5, v8
	global_load_dword v8, v[0:1], off
	v_lshlrev_b64 v[4:5], 2, v[4:5]
	v_mov_b32_e32 v91, 0x1200
	v_add_co_u32_e32 v4, vcc, v10, v4
	v_addc_co_u32_e32 v5, vcc, v11, v5, vcc
	global_load_dword v4, v[4:5], off
	v_mad_u64_u32 v[0:1], s[0:1], s12, v91, v[0:1]
	s_mul_i32 s0, s13, 0x1200
	s_mul_i32 s1, s13, 0xffffd540
	v_add_u32_e32 v1, s0, v1
	s_mul_hi_u32 s0, s12, 0xffffd540
	global_load_dword v5, v[0:1], off
	s_sub_i32 s0, s0, s12
	global_load_dword v96, v[6:7], off offset:3328
	s_add_i32 s0, s0, s1
	s_mul_i32 s1, s12, 0xffffd540
	v_mov_b32_e32 v16, s0
	v_add_co_u32_e32 v0, vcc, s1, v0
	v_addc_co_u32_e32 v1, vcc, v1, v16, vcc
	global_load_dword v16, v[0:1], off
	v_add_co_u32_e32 v0, vcc, s18, v0
	v_mov_b32_e32 v17, s17
	v_mov_b32_e32 v18, s17
	;; [unrolled: 1-line block ×3, first 2 shown]
	s_movk_i32 s12, 0x3000
	v_mov_b32_e32 v21, s17
	v_mov_b32_e32 v22, s17
	v_add_u32_e32 v115, 0xa00, v100
	v_add_u32_e32 v108, 0x1400, v100
	v_add_u32_e32 v113, 0x1c00, v100
	v_add_u32_e32 v112, 0x2600, v100
	v_add_u32_e32 v111, 0x2e00, v100
	v_add_u32_e32 v88, 0x400, v100
	v_add_u32_e32 v106, 0x1200, v100
	s_waitcnt vmcnt(17)
	v_lshrrev_b32_e32 v10, 16, v12
	v_mul_f16_sdwa v11, v99, v10 dst_sel:DWORD dst_unused:UNUSED_PAD src0_sel:WORD_1 src1_sel:DWORD
	v_fma_f16 v11, v99, v12, v11
	v_mul_f16_sdwa v12, v99, v12 dst_sel:DWORD dst_unused:UNUSED_PAD src0_sel:WORD_1 src1_sel:DWORD
	v_fma_f16 v10, v99, v10, -v12
	v_mov_b32_e32 v12, s17
	v_addc_co_u32_e32 v1, vcc, v1, v12, vcc
	global_load_dword v12, v[0:1], off
	v_add_co_u32_e32 v0, vcc, s18, v0
	v_addc_co_u32_e32 v1, vcc, v1, v17, vcc
	global_load_dword v17, v[0:1], off
	global_load_dword v92, v[2:3], off offset:1088
	v_add_co_u32_e32 v0, vcc, s18, v0
	v_addc_co_u32_e32 v1, vcc, v1, v18, vcc
	global_load_dword v18, v[0:1], off
	global_load_dword v89, v[2:3], off offset:3392
	;; [unrolled: 4-line block ×3, first 2 shown]
	v_pack_b32_f16 v10, v11, v10
	s_waitcnt vmcnt(23)
	v_lshrrev_b32_e32 v11, 16, v13
	s_waitcnt vmcnt(16)
	v_mul_f16_sdwa v20, v103, v11 dst_sel:DWORD dst_unused:UNUSED_PAD src0_sel:WORD_1 src1_sel:DWORD
	v_fma_f16 v20, v103, v13, v20
	v_mul_f16_sdwa v13, v103, v13 dst_sel:DWORD dst_unused:UNUSED_PAD src0_sel:WORD_1 src1_sel:DWORD
	v_fma_f16 v11, v103, v11, -v13
	v_mov_b32_e32 v13, s17
	v_add_co_u32_e32 v0, vcc, s18, v0
	v_addc_co_u32_e32 v1, vcc, v1, v13, vcc
	global_load_dword v13, v[0:1], off
	global_load_dword v84, v[6:7], off offset:3904
	v_pack_b32_f16 v11, v20, v11
	ds_write_b32 v100, v11 offset:2304
	s_waitcnt vmcnt(16)
	v_lshrrev_b32_e32 v11, 16, v9
	global_load_dword v80, v[2:3], off offset:1664
	global_load_dword v77, v[2:3], off offset:3968
	;; [unrolled: 1-line block ×3, first 2 shown]
	s_waitcnt vmcnt(18)
	v_mul_f16_sdwa v2, v101, v11 dst_sel:DWORD dst_unused:UNUSED_PAD src0_sel:WORD_1 src1_sel:DWORD
	v_mul_f16_sdwa v3, v101, v9 dst_sel:DWORD dst_unused:UNUSED_PAD src0_sel:WORD_1 src1_sel:DWORD
	v_fma_f16 v2, v101, v9, v2
	v_fma_f16 v3, v101, v11, -v3
	v_pack_b32_f16 v2, v2, v3
	ds_write_b32 v100, v2 offset:4608
	s_waitcnt vmcnt(16)
	v_lshrrev_b32_e32 v2, 16, v8
	v_mul_f16_sdwa v3, v98, v2 dst_sel:DWORD dst_unused:UNUSED_PAD src0_sel:WORD_1 src1_sel:DWORD
	v_fma_f16 v3, v98, v8, v3
	v_mul_f16_sdwa v8, v98, v8 dst_sel:DWORD dst_unused:UNUSED_PAD src0_sel:WORD_1 src1_sel:DWORD
	v_fma_f16 v2, v98, v2, -v8
	v_pack_b32_f16 v2, v3, v2
	ds_write_b32 v100, v2 offset:6912
	s_waitcnt vmcnt(15)
	v_lshrrev_b32_e32 v2, 16, v4
	v_mul_f16_sdwa v3, v95, v2 dst_sel:DWORD dst_unused:UNUSED_PAD src0_sel:WORD_1 src1_sel:DWORD
	v_fma_f16 v3, v95, v4, v3
	v_mul_f16_sdwa v4, v95, v4 dst_sel:DWORD dst_unused:UNUSED_PAD src0_sel:WORD_1 src1_sel:DWORD
	v_fma_f16 v2, v95, v2, -v4
	v_pack_b32_f16 v2, v3, v2
	global_load_dword v76, v[6:7], off offset:2176
	global_load_dword v69, v[6:7], off offset:2752
	;; [unrolled: 1-line block ×3, first 2 shown]
	ds_write_b32 v100, v2 offset:9216
	s_waitcnt vmcnt(17)
	v_lshrrev_b32_e32 v2, 16, v5
	s_waitcnt vmcnt(16)
	v_mul_f16_sdwa v3, v96, v2 dst_sel:DWORD dst_unused:UNUSED_PAD src0_sel:WORD_1 src1_sel:DWORD
	v_mul_f16_sdwa v4, v96, v5 dst_sel:DWORD dst_unused:UNUSED_PAD src0_sel:WORD_1 src1_sel:DWORD
	v_fma_f16 v3, v96, v5, v3
	v_fma_f16 v2, v96, v2, -v4
	v_pack_b32_f16 v2, v3, v2
	ds_write_b32 v100, v2 offset:11520
	s_waitcnt vmcnt(15)
	v_lshrrev_b32_e32 v2, 16, v16
	v_mul_f16_sdwa v3, v90, v2 dst_sel:DWORD dst_unused:UNUSED_PAD src0_sel:WORD_1 src1_sel:DWORD
	v_mul_f16_sdwa v4, v90, v16 dst_sel:DWORD dst_unused:UNUSED_PAD src0_sel:WORD_1 src1_sel:DWORD
	v_fma_f16 v3, v90, v16, v3
	v_fma_f16 v2, v90, v2, -v4
	v_pack_b32_f16 v2, v3, v2
	v_mov_b32_e32 v3, s0
	v_add_co_u32_e32 v0, vcc, s1, v0
	ds_write2_b32 v100, v10, v2 offset1:144
	v_addc_co_u32_e32 v1, vcc, v1, v3, vcc
	global_load_dword v4, v[0:1], off
	v_add_co_u32_e32 v0, vcc, s18, v0
	v_mov_b32_e32 v20, s17
	v_add_u32_e32 v104, 0x2400, v100
	v_add_u32_e32 v107, 0x800, v100
	;; [unrolled: 1-line block ×4, first 2 shown]
	s_waitcnt vmcnt(15)
	v_lshrrev_b32_e32 v2, 16, v12
	v_mul_f16_sdwa v3, v93, v2 dst_sel:DWORD dst_unused:UNUSED_PAD src0_sel:WORD_1 src1_sel:DWORD
	v_mul_f16_sdwa v5, v93, v12 dst_sel:DWORD dst_unused:UNUSED_PAD src0_sel:WORD_1 src1_sel:DWORD
	v_fma_f16 v3, v93, v12, v3
	v_fma_f16 v2, v93, v2, -v5
	v_pack_b32_f16 v5, v3, v2
	s_waitcnt vmcnt(14)
	v_lshrrev_b32_e32 v2, 16, v17
	s_waitcnt vmcnt(13)
	v_mul_f16_sdwa v3, v92, v2 dst_sel:DWORD dst_unused:UNUSED_PAD src0_sel:WORD_1 src1_sel:DWORD
	v_mul_f16_sdwa v6, v92, v17 dst_sel:DWORD dst_unused:UNUSED_PAD src0_sel:WORD_1 src1_sel:DWORD
	v_fma_f16 v3, v92, v17, v3
	v_fma_f16 v2, v92, v2, -v6
	v_pack_b32_f16 v6, v3, v2
	s_waitcnt vmcnt(12)
	v_lshrrev_b32_e32 v2, 16, v18
	s_waitcnt vmcnt(11)
	;; [unrolled: 8-line block ×3, first 2 shown]
	v_mul_f16_sdwa v3, v86, v2 dst_sel:DWORD dst_unused:UNUSED_PAD src0_sel:WORD_1 src1_sel:DWORD
	v_mul_f16_sdwa v8, v86, v19 dst_sel:DWORD dst_unused:UNUSED_PAD src0_sel:WORD_1 src1_sel:DWORD
	v_fma_f16 v3, v86, v19, v3
	v_fma_f16 v2, v86, v2, -v8
	v_pack_b32_f16 v8, v3, v2
	v_mov_b32_e32 v2, s17
	v_addc_co_u32_e32 v1, vcc, v1, v2, vcc
	global_load_dword v9, v[0:1], off
	v_mov_b32_e32 v3, s17
	v_add_co_u32_e32 v0, vcc, s18, v0
	v_addc_co_u32_e32 v1, vcc, v1, v3, vcc
	s_waitcnt vmcnt(9)
	v_lshrrev_b32_e32 v10, 16, v13
	global_load_dword v11, v[0:1], off
	s_waitcnt vmcnt(9)
	v_mul_f16_sdwa v2, v84, v10 dst_sel:DWORD dst_unused:UNUSED_PAD src0_sel:WORD_1 src1_sel:DWORD
	v_fma_f16 v12, v84, v13, v2
	v_mov_b32_e32 v2, s17
	v_add_co_u32_e32 v0, vcc, s18, v0
	v_addc_co_u32_e32 v1, vcc, v1, v2, vcc
	global_load_dword v16, v[0:1], off
	v_add_co_u32_e32 v0, vcc, s18, v0
	v_addc_co_u32_e32 v1, vcc, v1, v2, vcc
	global_load_dword v17, v[0:1], off
	v_add_co_u32_e32 v0, vcc, s18, v0
	v_addc_co_u32_e32 v1, vcc, v1, v2, vcc
	v_add_co_u32_e32 v2, vcc, s12, v14
	global_load_dword v18, v[0:1], off
	v_addc_co_u32_e32 v3, vcc, 0, v15, vcc
	global_load_dword v75, v[2:3], off offset:384
	v_mov_b32_e32 v14, s0
	v_add_co_u32_e32 v0, vcc, s1, v0
	v_addc_co_u32_e32 v1, vcc, v1, v14, vcc
	v_mul_f16_sdwa v13, v84, v13 dst_sel:DWORD dst_unused:UNUSED_PAD src0_sel:WORD_1 src1_sel:DWORD
	global_load_dword v14, v[0:1], off
	v_fma_f16 v10, v84, v10, -v13
	v_pack_b32_f16 v10, v12, v10
	v_mov_b32_e32 v12, s17
	v_add_co_u32_e32 v0, vcc, s18, v0
	v_addc_co_u32_e32 v1, vcc, v1, v12, vcc
	global_load_dword v12, v[0:1], off
	v_mov_b32_e32 v15, s17
	v_add_co_u32_e32 v0, vcc, s18, v0
	v_addc_co_u32_e32 v1, vcc, v1, v15, vcc
	global_load_dword v15, v[0:1], off
	v_add_co_u32_e32 v0, vcc, s18, v0
	v_addc_co_u32_e32 v1, vcc, v1, v20, vcc
	global_load_dword v20, v[0:1], off
	;; [unrolled: 3-line block ×4, first 2 shown]
	global_load_dword v70, v[2:3], off offset:960
	s_waitcnt vmcnt(13)
	v_lshrrev_b32_e32 v13, 16, v4
	v_mul_f16_sdwa v19, v79, v13 dst_sel:DWORD dst_unused:UNUSED_PAD src0_sel:WORD_1 src1_sel:DWORD
	v_fma_f16 v19, v79, v4, v19
	v_mul_f16_sdwa v4, v79, v4 dst_sel:DWORD dst_unused:UNUSED_PAD src0_sel:WORD_1 src1_sel:DWORD
	v_fma_f16 v0, v79, v13, -v4
	v_pack_b32_f16 v0, v19, v0
	s_movk_i32 s0, 0x3aee
	s_mov_b32 s1, 0xbaee
	v_add_u32_e32 v87, 0xc00, v100
	v_add_u32_e32 v85, 0x1600, v100
	;; [unrolled: 1-line block ×5, first 2 shown]
	s_waitcnt vmcnt(12)
	v_lshrrev_b32_e32 v1, 16, v9
	v_mul_f16_sdwa v2, v78, v1 dst_sel:DWORD dst_unused:UNUSED_PAD src0_sel:WORD_1 src1_sel:DWORD
	v_mul_f16_sdwa v3, v78, v9 dst_sel:DWORD dst_unused:UNUSED_PAD src0_sel:WORD_1 src1_sel:DWORD
	v_fma_f16 v2, v78, v9, v2
	v_fma_f16 v1, v78, v1, -v3
	v_pack_b32_f16 v1, v2, v1
	ds_write2_b32 v115, v5, v1 offset0:80 offset1:224
	s_waitcnt vmcnt(11)
	v_lshrrev_b32_e32 v1, 16, v11
	v_mul_f16_sdwa v2, v80, v1 dst_sel:DWORD dst_unused:UNUSED_PAD src0_sel:WORD_1 src1_sel:DWORD
	v_mul_f16_sdwa v3, v80, v11 dst_sel:DWORD dst_unused:UNUSED_PAD src0_sel:WORD_1 src1_sel:DWORD
	v_fma_f16 v2, v80, v11, v2
	v_fma_f16 v1, v80, v1, -v3
	v_pack_b32_f16 v1, v2, v1
	ds_write2_b32 v108, v6, v1 offset0:16 offset1:160
	v_add_co_u32_e32 v43, vcc, s16, v97
	s_waitcnt vmcnt(10)
	v_lshrrev_b32_e32 v1, 16, v16
	v_mul_f16_sdwa v2, v77, v1 dst_sel:DWORD dst_unused:UNUSED_PAD src0_sel:WORD_1 src1_sel:DWORD
	v_mul_f16_sdwa v3, v77, v16 dst_sel:DWORD dst_unused:UNUSED_PAD src0_sel:WORD_1 src1_sel:DWORD
	v_fma_f16 v2, v77, v16, v2
	v_fma_f16 v1, v77, v1, -v3
	v_pack_b32_f16 v1, v2, v1
	ds_write2_b32 v113, v7, v1 offset0:80 offset1:224
	s_waitcnt vmcnt(9)
	v_lshrrev_b32_e32 v1, 16, v17
	v_mul_f16_sdwa v2, v76, v1 dst_sel:DWORD dst_unused:UNUSED_PAD src0_sel:WORD_1 src1_sel:DWORD
	v_mul_f16_sdwa v3, v76, v17 dst_sel:DWORD dst_unused:UNUSED_PAD src0_sel:WORD_1 src1_sel:DWORD
	v_fma_f16 v2, v76, v17, v2
	v_fma_f16 v1, v76, v1, -v3
	v_pack_b32_f16 v1, v2, v1
	ds_write2_b32 v112, v8, v1 offset0:16 offset1:160
	s_waitcnt vmcnt(8)
	v_lshrrev_b32_e32 v1, 16, v18
	s_waitcnt vmcnt(7)
	v_mul_f16_sdwa v2, v75, v1 dst_sel:DWORD dst_unused:UNUSED_PAD src0_sel:WORD_1 src1_sel:DWORD
	v_mul_f16_sdwa v3, v75, v18 dst_sel:DWORD dst_unused:UNUSED_PAD src0_sel:WORD_1 src1_sel:DWORD
	v_fma_f16 v2, v75, v18, v2
	v_fma_f16 v1, v75, v1, -v3
	v_pack_b32_f16 v1, v2, v1
	ds_write2_b32 v111, v10, v1 offset0:80 offset1:224
	s_waitcnt vmcnt(6)
	v_lshrrev_b32_e32 v1, 16, v14
	v_mul_f16_sdwa v2, v74, v1 dst_sel:DWORD dst_unused:UNUSED_PAD src0_sel:WORD_1 src1_sel:DWORD
	v_mul_f16_sdwa v3, v74, v14 dst_sel:DWORD dst_unused:UNUSED_PAD src0_sel:WORD_1 src1_sel:DWORD
	v_fma_f16 v2, v74, v14, v2
	v_fma_f16 v1, v74, v1, -v3
	v_pack_b32_f16 v1, v2, v1
	ds_write2_b32 v88, v0, v1 offset0:32 offset1:176
	s_movk_i32 s13, 0x120
	s_waitcnt vmcnt(5)
	v_lshrrev_b32_e32 v0, 16, v12
	v_mul_f16_sdwa v1, v72, v0 dst_sel:DWORD dst_unused:UNUSED_PAD src0_sel:WORD_1 src1_sel:DWORD
	v_mul_f16_sdwa v2, v72, v12 dst_sel:DWORD dst_unused:UNUSED_PAD src0_sel:WORD_1 src1_sel:DWORD
	v_fma_f16 v1, v72, v12, v1
	v_fma_f16 v0, v72, v0, -v2
	v_pack_b32_f16 v0, v1, v0
	ds_write_b32 v100, v0 offset:4032
	s_waitcnt vmcnt(4)
	v_lshrrev_b32_e32 v0, 16, v15
	v_mul_f16_sdwa v1, v73, v0 dst_sel:DWORD dst_unused:UNUSED_PAD src0_sel:WORD_1 src1_sel:DWORD
	v_mul_f16_sdwa v2, v73, v15 dst_sel:DWORD dst_unused:UNUSED_PAD src0_sel:WORD_1 src1_sel:DWORD
	v_fma_f16 v1, v73, v15, v1
	v_fma_f16 v0, v73, v0, -v2
	v_pack_b32_f16 v0, v1, v0
	ds_write_b32 v100, v0 offset:6336
	;; [unrolled: 8-line block ×4, first 2 shown]
	s_waitcnt vmcnt(1)
	v_lshrrev_b32_e32 v0, 16, v22
	s_waitcnt vmcnt(0)
	v_mul_f16_sdwa v1, v70, v0 dst_sel:DWORD dst_unused:UNUSED_PAD src0_sel:WORD_1 src1_sel:DWORD
	v_mul_f16_sdwa v2, v70, v22 dst_sel:DWORD dst_unused:UNUSED_PAD src0_sel:WORD_1 src1_sel:DWORD
	v_fma_f16 v1, v70, v22, v1
	v_fma_f16 v0, v70, v0, -v2
	v_pack_b32_f16 v0, v1, v0
	ds_write_b32 v100, v0 offset:13248
	s_waitcnt lgkmcnt(0)
	s_barrier
	ds_read2_b32 v[0:1], v100 offset1:144
	ds_read2_b32 v[4:5], v106 offset1:144
	;; [unrolled: 1-line block ×3, first 2 shown]
	ds_read2_b32 v[2:3], v107 offset0:64 offset1:208
	ds_read2_b32 v[6:7], v105 offset0:64 offset1:208
	s_waitcnt lgkmcnt(4)
	v_lshrrev_b32_e32 v18, 16, v0
	s_waitcnt lgkmcnt(3)
	v_add_f16_e32 v20, v0, v4
	s_waitcnt lgkmcnt(2)
	v_add_f16_e32 v22, v20, v8
	v_add_f16_e32 v20, v4, v8
	v_fma_f16 v0, v20, -0.5, v0
	v_sub_f16_sdwa v20, v4, v8 dst_sel:DWORD dst_unused:UNUSED_PAD src0_sel:WORD_1 src1_sel:WORD_1
	ds_read2_b32 v[10:11], v102 offset0:64 offset1:208
	ds_read2_b32 v[12:13], v88 offset0:32 offset1:176
	v_fma_f16 v28, v20, s0, v0
	v_fma_f16 v0, v20, s1, v0
	v_add_f16_sdwa v20, v18, v4 dst_sel:DWORD dst_unused:UNUSED_PAD src0_sel:DWORD src1_sel:WORD_1
	v_add_f16_sdwa v23, v20, v8 dst_sel:DWORD dst_unused:UNUSED_PAD src0_sel:DWORD src1_sel:WORD_1
	v_add_f16_sdwa v20, v4, v8 dst_sel:DWORD dst_unused:UNUSED_PAD src0_sel:WORD_1 src1_sel:WORD_1
	v_fma_f16 v18, v20, -0.5, v18
	v_sub_f16_e32 v4, v4, v8
	v_fma_f16 v8, v4, s1, v18
	v_fma_f16 v4, v4, s0, v18
	s_waitcnt lgkmcnt(2)
	v_add_f16_e32 v18, v2, v6
	s_waitcnt lgkmcnt(1)
	v_add_f16_e32 v24, v18, v10
	v_add_f16_e32 v18, v6, v10
	v_lshrrev_b32_e32 v19, 16, v2
	v_fma_f16 v2, v18, -0.5, v2
	v_sub_f16_sdwa v18, v6, v10 dst_sel:DWORD dst_unused:UNUSED_PAD src0_sel:WORD_1 src1_sel:WORD_1
	v_fma_f16 v25, v18, s0, v2
	v_fma_f16 v2, v18, s1, v2
	v_add_f16_sdwa v18, v19, v6 dst_sel:DWORD dst_unused:UNUSED_PAD src0_sel:DWORD src1_sel:WORD_1
	v_add_f16_sdwa v26, v18, v10 dst_sel:DWORD dst_unused:UNUSED_PAD src0_sel:DWORD src1_sel:WORD_1
	v_add_f16_sdwa v18, v6, v10 dst_sel:DWORD dst_unused:UNUSED_PAD src0_sel:WORD_1 src1_sel:WORD_1
	v_fma_f16 v27, v18, -0.5, v19
	v_sub_f16_e32 v6, v6, v10
	v_fma_f16 v10, v6, s0, v27
	v_mul_f16_e32 v18, -0.5, v2
	v_fma_f16 v29, v10, s0, v18
	v_mul_f16_e32 v10, -0.5, v10
	v_fma_f16 v2, v2, s1, v10
	v_add_f16_e32 v18, v0, v29
	v_add_f16_e32 v10, v4, v2
	v_fma_f16 v6, v6, s1, v27
	v_sub_f16_e32 v19, v22, v24
	v_pack_b32_f16 v18, v18, v10
	v_add_f16_e32 v10, v22, v24
	v_mul_f16_e32 v22, 0x3aee, v6
	v_mul_f16_e32 v24, 0xbaee, v25
	v_fma_f16 v30, v25, 0.5, v22
	v_add_f16_e32 v22, v23, v26
	v_fma_f16 v6, v6, 0.5, v24
	v_sub_f16_e32 v20, v23, v26
	v_add_f16_e32 v23, v28, v30
	v_add_f16_e32 v24, v8, v6
	v_pack_b32_f16 v22, v10, v22
	v_mul_lo_u16_e32 v10, 6, v97
	v_pack_b32_f16 v19, v19, v20
	v_pack_b32_f16 v23, v23, v24
	v_lshlrev_b32_e32 v114, 2, v10
	v_add_f16_e32 v10, v5, v9
	ds_read2_b32 v[14:15], v87 offset0:96 offset1:240
	ds_read2_b32 v[16:17], v85 offset0:32 offset1:176
	;; [unrolled: 1-line block ×5, first 2 shown]
	s_waitcnt lgkmcnt(0)
	s_barrier
	ds_write2_b64 v114, v[22:23], v[18:19] offset1:1
	v_fma_f16 v10, v10, -0.5, v1
	v_lshrrev_b32_e32 v18, 16, v1
	v_add_f16_e32 v1, v1, v5
	v_add_f16_sdwa v22, v18, v5 dst_sel:DWORD dst_unused:UNUSED_PAD src0_sel:DWORD src1_sel:WORD_1
	v_add_f16_sdwa v23, v5, v9 dst_sel:DWORD dst_unused:UNUSED_PAD src0_sel:WORD_1 src1_sel:WORD_1
	v_add_f16_e32 v31, v1, v9
	v_add_f16_e32 v1, v7, v11
	v_sub_f16_sdwa v19, v5, v9 dst_sel:DWORD dst_unused:UNUSED_PAD src0_sel:WORD_1 src1_sel:WORD_1
	v_sub_f16_e32 v5, v5, v9
	v_add_f16_sdwa v9, v22, v9 dst_sel:DWORD dst_unused:UNUSED_PAD src0_sel:DWORD src1_sel:WORD_1
	v_fma_f16 v1, v1, -0.5, v3
	v_lshrrev_b32_e32 v22, 16, v3
	v_sub_f16_sdwa v32, v7, v11 dst_sel:DWORD dst_unused:UNUSED_PAD src0_sel:WORD_1 src1_sel:WORD_1
	v_add_f16_sdwa v34, v7, v11 dst_sel:DWORD dst_unused:UNUSED_PAD src0_sel:WORD_1 src1_sel:WORD_1
	v_fma_f16 v18, v23, -0.5, v18
	v_add_f16_e32 v3, v3, v7
	v_add_f16_sdwa v33, v22, v7 dst_sel:DWORD dst_unused:UNUSED_PAD src0_sel:DWORD src1_sel:WORD_1
	v_sub_f16_e32 v7, v7, v11
	v_sub_f16_e32 v28, v28, v30
	;; [unrolled: 1-line block ×5, first 2 shown]
	v_fma_f16 v4, v19, s0, v10
	v_fma_f16 v8, v19, s1, v10
	;; [unrolled: 1-line block ×6, first 2 shown]
	v_fma_f16 v1, v34, -0.5, v22
	v_fma_f16 v22, v7, s1, v1
	v_fma_f16 v7, v7, s0, v1
	v_pack_b32_f16 v1, v0, v2
	v_pack_b32_f16 v0, v28, v6
	v_mul_f16_e32 v2, 0x3aee, v22
	ds_write_b64 v114, v[0:1] offset:16
	v_mul_f16_e32 v1, 0xbaee, v18
	v_fma_f16 v6, v18, 0.5, v2
	v_mul_f16_e32 v0, -0.5, v23
	v_fma_f16 v18, v22, 0.5, v1
	v_mul_f16_e32 v1, -0.5, v7
	v_add_f16_e32 v3, v3, v11
	v_fma_f16 v28, v7, s0, v0
	v_fma_f16 v7, v23, s1, v1
	v_add_f16_sdwa v11, v33, v11 dst_sel:DWORD dst_unused:UNUSED_PAD src0_sel:DWORD src1_sel:WORD_1
	v_add_f16_e32 v30, v31, v3
	v_add_f16_e32 v0, v8, v28
	v_sub_f16_e32 v1, v31, v3
	v_add_f16_e32 v3, v5, v7
	v_add_f16_e32 v2, v4, v6
	;; [unrolled: 1-line block ×4, first 2 shown]
	v_sub_f16_e32 v9, v9, v11
	v_pack_b32_f16 v0, v0, v3
	v_add_f16_e32 v3, v16, v24
	v_lshrrev_b32_e32 v10, 16, v12
	v_pack_b32_f16 v1, v1, v9
	v_fma_f16 v9, v3, -0.5, v12
	v_pack_b32_f16 v3, v2, v23
	v_mul_u32_u24_e32 v23, 6, v43
	v_add_f16_e32 v11, v12, v16
	v_pack_b32_f16 v2, v30, v22
	v_add_f16_sdwa v22, v10, v16 dst_sel:DWORD dst_unused:UNUSED_PAD src0_sel:DWORD src1_sel:WORD_1
	v_lshlrev_b32_e32 v116, 2, v23
	v_sub_f16_sdwa v12, v16, v24 dst_sel:DWORD dst_unused:UNUSED_PAD src0_sel:WORD_1 src1_sel:WORD_1
	ds_write2_b64 v116, v[2:3], v[0:1] offset1:1
	v_add_f16_sdwa v0, v16, v24 dst_sel:DWORD dst_unused:UNUSED_PAD src0_sel:WORD_1 src1_sel:WORD_1
	v_sub_f16_e32 v1, v16, v24
	v_add_f16_e32 v11, v11, v24
	v_add_f16_sdwa v22, v22, v24 dst_sel:DWORD dst_unused:UNUSED_PAD src0_sel:DWORD src1_sel:WORD_1
	v_add_f16_e32 v24, v20, v26
	v_lshrrev_b32_e32 v30, 16, v14
	v_add_f16_sdwa v34, v20, v26 dst_sel:DWORD dst_unused:UNUSED_PAD src0_sel:WORD_1 src1_sel:WORD_1
	v_fma_f16 v24, v24, -0.5, v14
	v_add_f16_e32 v14, v14, v20
	v_sub_f16_sdwa v32, v20, v26 dst_sel:DWORD dst_unused:UNUSED_PAD src0_sel:WORD_1 src1_sel:WORD_1
	v_add_f16_sdwa v33, v30, v20 dst_sel:DWORD dst_unused:UNUSED_PAD src0_sel:DWORD src1_sel:WORD_1
	v_sub_f16_e32 v20, v20, v26
	v_sub_f16_e32 v4, v4, v6
	;; [unrolled: 1-line block ×4, first 2 shown]
	v_fma_f16 v18, v34, -0.5, v30
	v_fma_f16 v0, v0, -0.5, v10
	v_fma_f16 v19, v20, s1, v18
	v_fma_f16 v10, v1, s1, v0
	;; [unrolled: 1-line block ×5, first 2 shown]
	v_mul_f16_e32 v20, 0x3aee, v19
	v_lshrrev_b32_e32 v29, 16, v13
	v_sub_f16_e32 v5, v5, v7
	v_fma_f16 v7, v12, s0, v9
	v_fma_f16 v9, v12, s1, v9
	;; [unrolled: 1-line block ×3, first 2 shown]
	v_fma_f16 v20, v1, 0.5, v20
	v_mul_f16_e32 v1, 0xbaee, v1
	v_add_f16_e32 v2, v13, v17
	v_add_f16_e32 v3, v17, v25
	v_add_f16_sdwa v16, v29, v17 dst_sel:DWORD dst_unused:UNUSED_PAD src0_sel:DWORD src1_sel:WORD_1
	v_fma_f16 v1, v19, 0.5, v1
	v_mul_f16_e32 v19, -0.5, v12
	v_fma_f16 v3, v3, -0.5, v13
	v_sub_f16_sdwa v13, v17, v25 dst_sel:DWORD dst_unused:UNUSED_PAD src0_sel:WORD_1 src1_sel:WORD_1
	v_add_f16_sdwa v23, v17, v25 dst_sel:DWORD dst_unused:UNUSED_PAD src0_sel:WORD_1 src1_sel:WORD_1
	v_sub_f16_e32 v17, v17, v25
	v_add_f16_e32 v2, v2, v25
	v_add_f16_sdwa v16, v16, v25 dst_sel:DWORD dst_unused:UNUSED_PAD src0_sel:DWORD src1_sel:WORD_1
	v_add_f16_e32 v25, v21, v27
	v_lshrrev_b32_e32 v31, 16, v15
	v_add_f16_sdwa v37, v21, v27 dst_sel:DWORD dst_unused:UNUSED_PAD src0_sel:WORD_1 src1_sel:WORD_1
	v_fma_f16 v19, v18, s0, v19
	v_mul_f16_e32 v18, -0.5, v18
	v_fma_f16 v25, v25, -0.5, v15
	v_add_f16_e32 v15, v15, v21
	v_sub_f16_sdwa v35, v21, v27 dst_sel:DWORD dst_unused:UNUSED_PAD src0_sel:WORD_1 src1_sel:WORD_1
	v_add_f16_sdwa v36, v31, v21 dst_sel:DWORD dst_unused:UNUSED_PAD src0_sel:DWORD src1_sel:WORD_1
	v_sub_f16_e32 v21, v21, v27
	v_add_f16_e32 v14, v14, v26
	v_add_f16_sdwa v26, v33, v26 dst_sel:DWORD dst_unused:UNUSED_PAD src0_sel:DWORD src1_sel:WORD_1
	v_fma_f16 v12, v12, s1, v18
	v_fma_f16 v28, v37, -0.5, v31
	v_add_f16_e32 v18, v11, v14
	v_sub_f16_e32 v11, v11, v14
	v_add_f16_e32 v14, v7, v20
	v_sub_f16_e32 v7, v7, v20
	;; [unrolled: 2-line block ×6, first 2 shown]
	v_fma_f16 v0, v13, s0, v3
	v_fma_f16 v1, v13, s1, v3
	v_fma_f16 v3, v23, -0.5, v29
	v_fma_f16 v29, v21, s1, v28
	v_fma_f16 v13, v17, s1, v3
	;; [unrolled: 1-line block ×5, first 2 shown]
	v_mul_f16_e32 v28, 0x3aee, v29
	v_fma_f16 v23, v35, s1, v25
	v_fma_f16 v28, v17, 0.5, v28
	v_mul_f16_e32 v17, 0xbaee, v17
	v_fma_f16 v17, v29, 0.5, v17
	v_mul_f16_e32 v29, -0.5, v23
	v_fma_f16 v29, v21, s0, v29
	v_add_co_u32_e32 v25, vcc, s13, v97
	v_mul_f16_e32 v21, -0.5, v21
	v_add_f16_e32 v30, v0, v28
	v_sub_f16_e32 v28, v0, v28
	v_add_f16_e32 v31, v1, v29
	v_sub_f16_e32 v29, v1, v29
	v_pack_b32_f16 v1, v6, v5
	v_pack_b32_f16 v0, v4, v8
	v_add_f16_e32 v15, v15, v27
	v_add_f16_sdwa v27, v36, v27 dst_sel:DWORD dst_unused:UNUSED_PAD src0_sel:DWORD src1_sel:WORD_1
	v_fma_f16 v21, v23, s1, v21
	ds_write_b64 v116, v[0:1] offset:16
	v_mul_u32_u24_e32 v0, 6, v25
	s_movk_i32 s13, 0x1b0
	v_add_f16_e32 v23, v2, v15
	v_sub_f16_e32 v15, v2, v15
	v_add_f16_e32 v32, v16, v27
	v_sub_f16_e32 v16, v16, v27
	;; [unrolled: 2-line block ×4, first 2 shown]
	v_lshlrev_b32_e32 v120, 2, v0
	v_pack_b32_f16 v0, v20, v26
	v_pack_b32_f16 v3, v14, v24
	;; [unrolled: 1-line block ×4, first 2 shown]
	v_add_co_u32_e32 v35, vcc, s13, v97
	ds_write2_b64 v120, v[2:3], v[0:1] offset1:1
	v_pack_b32_f16 v1, v9, v12
	v_pack_b32_f16 v0, v7, v10
	ds_write_b64 v120, v[0:1] offset:16
	v_mul_u32_u24_e32 v0, 6, v35
	v_lshlrev_b32_e32 v117, 2, v0
	v_pack_b32_f16 v0, v31, v17
	v_pack_b32_f16 v3, v30, v27
	;; [unrolled: 1-line block ×4, first 2 shown]
	ds_write2_b64 v117, v[2:3], v[0:1] offset1:1
	v_pack_b32_f16 v1, v29, v21
	v_pack_b32_f16 v0, v28, v13
	s_movk_i32 s13, 0xab
	ds_write_b64 v117, v[0:1] offset:16
	v_mul_lo_u16_sdwa v0, v97, s13 dst_sel:DWORD dst_unused:UNUSED_PAD src0_sel:BYTE_0 src1_sel:DWORD
	v_lshrrev_b16_e32 v14, 10, v0
	v_mul_lo_u16_e32 v0, 6, v14
	v_sub_u16_e32 v0, v97, v0
	v_and_b32_e32 v15, 0xff, v0
	v_mad_u64_u32 v[4:5], s[16:17], v15, 20, s[2:3]
	s_waitcnt lgkmcnt(0)
	s_barrier
	global_load_dwordx4 v[0:3], v[4:5], off
	global_load_dword v110, v[4:5], off offset:16
	ds_read2_b32 v[4:5], v100 offset1:144
	ds_read2_b32 v[23:24], v107 offset0:64 offset1:208
	ds_read2_b32 v[21:22], v106 offset1:144
	ds_read2_b32 v[19:20], v105 offset0:64 offset1:208
	ds_read2_b32 v[6:7], v104 offset1:144
	ds_read2_b32 v[26:27], v102 offset0:64 offset1:208
	s_waitcnt lgkmcnt(5)
	v_lshrrev_b32_e32 v8, 16, v4
	s_waitcnt lgkmcnt(3)
	v_lshrrev_b32_e32 v10, 16, v21
	v_lshrrev_b32_e32 v9, 16, v23
	s_waitcnt lgkmcnt(1)
	v_lshrrev_b32_e32 v12, 16, v6
	v_lshrrev_b32_e32 v11, 16, v19
	s_mov_b32 s13, 0xaaab
	v_mov_b32_e32 v36, s3
	s_load_dwordx2 s[4:5], s[4:5], 0x38
	s_waitcnt vmcnt(1)
	v_mul_f16_sdwa v16, v21, v1 dst_sel:DWORD dst_unused:UNUSED_PAD src0_sel:DWORD src1_sel:WORD_1
	v_mul_f16_sdwa v13, v10, v1 dst_sel:DWORD dst_unused:UNUSED_PAD src0_sel:DWORD src1_sel:WORD_1
	v_fma_f16 v10, v10, v1, v16
	v_mul_f16_sdwa v16, v12, v3 dst_sel:DWORD dst_unused:UNUSED_PAD src0_sel:DWORD src1_sel:WORD_1
	v_fma_f16 v16, v6, v3, -v16
	v_mul_f16_sdwa v6, v6, v3 dst_sel:DWORD dst_unused:UNUSED_PAD src0_sel:DWORD src1_sel:WORD_1
	v_fma_f16 v13, v21, v1, -v13
	v_fma_f16 v6, v12, v3, v6
	v_add_f16_e32 v12, v8, v10
	v_sub_f16_e32 v21, v10, v6
	v_add_f16_e32 v34, v12, v6
	v_add_f16_e32 v6, v10, v6
	;; [unrolled: 1-line block ×4, first 2 shown]
	v_fma_f16 v6, v6, -0.5, v8
	v_add_f16_e32 v17, v13, v16
	v_sub_f16_e32 v45, v13, v16
	v_mul_f16_sdwa v8, v23, v0 dst_sel:DWORD dst_unused:UNUSED_PAD src0_sel:DWORD src1_sel:WORD_1
	v_mul_f16_sdwa v10, v19, v2 dst_sel:DWORD dst_unused:UNUSED_PAD src0_sel:DWORD src1_sel:WORD_1
	s_waitcnt lgkmcnt(0)
	v_lshrrev_b32_e32 v16, 16, v26
	s_waitcnt vmcnt(0)
	v_mul_f16_sdwa v12, v26, v110 dst_sel:DWORD dst_unused:UNUSED_PAD src0_sel:DWORD src1_sel:WORD_1
	v_fma_f16 v8, v9, v0, v8
	v_fma_f16 v10, v11, v2, v10
	;; [unrolled: 1-line block ×3, first 2 shown]
	v_add_f16_e32 v13, v8, v10
	v_sub_f16_e32 v47, v10, v12
	v_add_f16_e32 v10, v10, v12
	v_fma_f16 v48, v10, -0.5, v8
	v_mul_f16_sdwa v8, v9, v0 dst_sel:DWORD dst_unused:UNUSED_PAD src0_sel:DWORD src1_sel:WORD_1
	v_fma_f16 v18, v23, v0, -v8
	v_mul_f16_sdwa v8, v11, v2 dst_sel:DWORD dst_unused:UNUSED_PAD src0_sel:DWORD src1_sel:WORD_1
	v_fma_f16 v19, v19, v2, -v8
	v_mul_u32_u24_sdwa v8, v43, s13 dst_sel:DWORD dst_unused:UNUSED_PAD src0_sel:WORD_0 src1_sel:DWORD
	v_lshrrev_b32_e32 v23, 18, v8
	v_mul_lo_u16_e32 v8, 6, v23
	v_sub_u16_e32 v49, v43, v8
	v_mul_lo_u16_e32 v8, 20, v49
	v_add_f16_e32 v46, v13, v12
	v_add_co_u32_e32 v12, vcc, s2, v8
	v_addc_co_u32_e32 v13, vcc, 0, v36, vcc
	global_load_dword v121, v[12:13], off offset:16
	global_load_dwordx4 v[8:11], v[12:13], off
	v_mul_f16_sdwa v12, v16, v110 dst_sel:DWORD dst_unused:UNUSED_PAD src0_sel:DWORD src1_sel:WORD_1
	v_fma_f16 v12, v26, v110, -v12
	v_add_f16_e32 v13, v19, v12
	v_fma_f16 v26, v13, -0.5, v18
	v_add_f16_e32 v13, v18, v19
	v_sub_f16_e32 v51, v19, v12
	v_add_f16_e32 v50, v13, v12
	v_fma_f16 v13, v51, s1, v48
	v_fma_f16 v12, v47, s0, v26
	v_mul_f16_e32 v16, 0x3aee, v13
	v_fma_f16 v52, v12, 0.5, v16
	v_mul_f16_e32 v12, 0xbaee, v12
	v_fma_f16 v53, v13, 0.5, v12
	v_mul_u32_u24_e32 v12, 36, v14
	v_fma_f16 v4, v17, -0.5, v4
	v_add_lshl_u32 v122, v12, v15, 2
	v_add_f16_e32 v12, v44, v50
	v_add_f16_e32 v13, v34, v46
	v_fma_f16 v55, v21, s0, v4
	v_fma_f16 v56, v45, s1, v6
	v_pack_b32_f16 v54, v12, v13
	v_add_f16_e32 v12, v55, v52
	v_add_f16_e32 v13, v56, v53
	v_pack_b32_f16 v57, v12, v13
	v_mul_u32_u24_sdwa v12, v25, s13 dst_sel:DWORD dst_unused:UNUSED_PAD src0_sel:WORD_0 src1_sel:DWORD
	v_lshrrev_b32_e32 v58, 18, v12
	v_mul_lo_u16_e32 v12, 6, v58
	v_sub_u16_e32 v59, v25, v12
	v_mul_lo_u16_e32 v12, 20, v59
	v_add_co_u32_e32 v28, vcc, s2, v12
	v_mul_u32_u24_sdwa v12, v35, s13 dst_sel:DWORD dst_unused:UNUSED_PAD src0_sel:WORD_0 src1_sel:DWORD
	v_lshrrev_b32_e32 v60, 18, v12
	v_mul_lo_u16_e32 v12, 6, v60
	v_sub_u16_e32 v61, v35, v12
	v_addc_co_u32_e32 v29, vcc, 0, v36, vcc
	v_mul_lo_u16_e32 v12, 20, v61
	v_add_co_u32_e32 v30, vcc, s2, v12
	v_addc_co_u32_e32 v31, vcc, 0, v36, vcc
	global_load_dword v119, v[28:29], off offset:16
	global_load_dwordx4 v[16:19], v[28:29], off
	global_load_dword v118, v[30:31], off offset:16
	global_load_dwordx4 v[12:15], v[30:31], off
	v_fma_f16 v4, v21, s1, v4
	v_fma_f16 v21, v47, s1, v26
	;; [unrolled: 1-line block ×4, first 2 shown]
	v_mul_f16_e32 v45, -0.5, v21
	v_fma_f16 v45, v26, s0, v45
	v_mul_f16_e32 v26, -0.5, v26
	v_fma_f16 v21, v21, s1, v26
	v_sub_f16_e32 v26, v44, v50
	v_sub_f16_e32 v34, v34, v46
	v_add_f16_e32 v44, v4, v45
	v_add_f16_e32 v46, v6, v21
	v_pack_b32_f16 v44, v44, v46
	v_pack_b32_f16 v26, v26, v34
	ds_read2_b32 v[28:29], v88 offset0:32 offset1:176
	ds_read2_b32 v[30:31], v87 offset0:96 offset1:240
	;; [unrolled: 1-line block ×6, first 2 shown]
	s_waitcnt vmcnt(0) lgkmcnt(0)
	s_barrier
	ds_write2_b32 v122, v44, v26 offset0:12 offset1:18
	v_sub_f16_e32 v26, v55, v52
	v_sub_f16_e32 v4, v4, v45
	;; [unrolled: 1-line block ×4, first 2 shown]
	v_pack_b32_f16 v21, v26, v34
	v_pack_b32_f16 v4, v4, v6
	ds_write2_b32 v122, v21, v4 offset0:24 offset1:30
	v_lshrrev_b32_e32 v4, 16, v24
	v_lshrrev_b32_e32 v45, 16, v5
	v_mad_legacy_u16 v23, v23, 36, v49
	v_lshlrev_b32_e32 v123, 2, v23
	ds_write2_b32 v122, v54, v57 offset1:6
	s_mov_b32 s13, 0xe38f
	v_mul_f16_sdwa v21, v24, v8 dst_sel:DWORD dst_unused:UNUSED_PAD src0_sel:DWORD src1_sel:WORD_1
	v_mul_f16_sdwa v6, v4, v8 dst_sel:DWORD dst_unused:UNUSED_PAD src0_sel:DWORD src1_sel:WORD_1
	v_fma_f16 v4, v4, v8, v21
	v_lshrrev_b32_e32 v21, 16, v22
	v_fma_f16 v6, v24, v8, -v6
	v_mul_f16_sdwa v24, v21, v9 dst_sel:DWORD dst_unused:UNUSED_PAD src0_sel:DWORD src1_sel:WORD_1
	v_fma_f16 v24, v22, v9, -v24
	v_mul_f16_sdwa v22, v22, v9 dst_sel:DWORD dst_unused:UNUSED_PAD src0_sel:DWORD src1_sel:WORD_1
	v_fma_f16 v21, v21, v9, v22
	v_lshrrev_b32_e32 v22, 16, v20
	v_mul_f16_sdwa v26, v22, v10 dst_sel:DWORD dst_unused:UNUSED_PAD src0_sel:DWORD src1_sel:WORD_1
	v_fma_f16 v26, v20, v10, -v26
	v_mul_f16_sdwa v20, v20, v10 dst_sel:DWORD dst_unused:UNUSED_PAD src0_sel:DWORD src1_sel:WORD_1
	v_fma_f16 v20, v22, v10, v20
	v_lshrrev_b32_e32 v22, 16, v7
	;; [unrolled: 5-line block ×3, first 2 shown]
	v_mul_f16_sdwa v44, v22, v121 dst_sel:DWORD dst_unused:UNUSED_PAD src0_sel:DWORD src1_sel:WORD_1
	v_fma_f16 v44, v27, v121, -v44
	v_mul_f16_sdwa v27, v27, v121 dst_sel:DWORD dst_unused:UNUSED_PAD src0_sel:DWORD src1_sel:WORD_1
	v_fma_f16 v22, v22, v121, v27
	v_add_f16_e32 v27, v24, v34
	v_fma_f16 v27, v27, -0.5, v5
	v_add_f16_e32 v5, v5, v24
	v_add_f16_e32 v46, v45, v21
	;; [unrolled: 1-line block ×3, first 2 shown]
	v_sub_f16_e32 v47, v21, v7
	v_add_f16_e32 v7, v21, v7
	v_add_f16_e32 v5, v5, v34
	v_sub_f16_e32 v21, v24, v34
	v_add_f16_e32 v24, v4, v20
	v_sub_f16_e32 v34, v20, v22
	v_add_f16_e32 v20, v20, v22
	v_fma_f16 v4, v20, -0.5, v4
	v_add_f16_e32 v20, v26, v44
	v_fma_f16 v20, v20, -0.5, v6
	v_fma_f16 v7, v7, -0.5, v45
	v_add_f16_e32 v24, v24, v22
	v_add_f16_e32 v6, v6, v26
	v_sub_f16_e32 v22, v26, v44
	v_fma_f16 v26, v34, s0, v20
	v_fma_f16 v20, v34, s1, v20
	v_add_f16_e32 v6, v6, v44
	v_fma_f16 v44, v22, s1, v4
	v_fma_f16 v49, v21, s1, v7
	;; [unrolled: 1-line block ×4, first 2 shown]
	v_mul_f16_e32 v21, -0.5, v20
	v_mul_f16_e32 v45, 0x3aee, v44
	v_fma_f16 v21, v4, s0, v21
	v_mul_f16_e32 v4, -0.5, v4
	v_fma_f16 v45, v26, 0.5, v45
	v_mul_f16_e32 v26, 0xbaee, v26
	v_fma_f16 v23, v47, s1, v27
	v_fma_f16 v4, v20, s1, v4
	v_fma_f16 v26, v44, 0.5, v26
	v_add_f16_e32 v44, v5, v6
	v_add_f16_e32 v48, v46, v24
	v_sub_f16_e32 v5, v5, v6
	v_sub_f16_e32 v6, v46, v24
	v_add_f16_e32 v20, v23, v21
	v_add_f16_e32 v22, v7, v4
	v_pack_b32_f16 v44, v44, v48
	v_fma_f16 v48, v47, s0, v27
	v_pack_b32_f16 v20, v20, v22
	v_pack_b32_f16 v5, v5, v6
	ds_write2_b32 v123, v20, v5 offset0:12 offset1:18
	v_sub_f16_e32 v5, v48, v45
	v_sub_f16_e32 v6, v23, v21
	;; [unrolled: 1-line block ×4, first 2 shown]
	v_pack_b32_f16 v5, v5, v20
	v_pack_b32_f16 v4, v6, v4
	ds_write2_b32 v123, v5, v4 offset0:24 offset1:30
	v_lshrrev_b32_e32 v4, 16, v32
	v_mul_f16_sdwa v5, v32, v17 dst_sel:DWORD dst_unused:UNUSED_PAD src0_sel:DWORD src1_sel:WORD_1
	v_fma_f16 v5, v4, v17, v5
	v_lshrrev_b32_e32 v6, 16, v39
	v_mul_f16_sdwa v7, v39, v19 dst_sel:DWORD dst_unused:UNUSED_PAD src0_sel:DWORD src1_sel:WORD_1
	v_lshrrev_b32_e32 v20, 16, v28
	v_mul_f16_sdwa v4, v4, v17 dst_sel:DWORD dst_unused:UNUSED_PAD src0_sel:DWORD src1_sel:WORD_1
	v_fma_f16 v7, v6, v19, v7
	v_add_f16_e32 v21, v20, v5
	v_fma_f16 v4, v32, v17, -v4
	v_mul_f16_sdwa v6, v6, v19 dst_sel:DWORD dst_unused:UNUSED_PAD src0_sel:DWORD src1_sel:WORD_1
	v_add_f16_e32 v21, v21, v7
	v_sub_f16_e32 v22, v5, v7
	v_add_f16_e32 v5, v5, v7
	v_fma_f16 v6, v39, v19, -v6
	v_add_f16_e32 v7, v28, v4
	v_add_f16_e32 v51, v49, v26
	v_fma_f16 v5, v5, -0.5, v20
	v_add_f16_e32 v7, v7, v6
	v_add_f16_e32 v20, v4, v6
	v_sub_f16_e32 v4, v4, v6
	v_lshrrev_b32_e32 v6, 16, v30
	v_mul_f16_sdwa v23, v30, v16 dst_sel:DWORD dst_unused:UNUSED_PAD src0_sel:DWORD src1_sel:WORD_1
	v_lshrrev_b32_e32 v24, 16, v37
	v_mul_f16_sdwa v26, v37, v18 dst_sel:DWORD dst_unused:UNUSED_PAD src0_sel:DWORD src1_sel:WORD_1
	;; [unrolled: 2-line block ×3, first 2 shown]
	v_fma_f16 v23, v6, v16, v23
	v_fma_f16 v26, v24, v18, v26
	;; [unrolled: 1-line block ×3, first 2 shown]
	v_add_f16_e32 v34, v23, v26
	v_sub_f16_e32 v39, v26, v32
	v_add_f16_e32 v26, v26, v32
	v_fma_f16 v23, v26, -0.5, v23
	v_mul_f16_sdwa v24, v24, v18 dst_sel:DWORD dst_unused:UNUSED_PAD src0_sel:DWORD src1_sel:WORD_1
	v_mul_f16_sdwa v26, v27, v119 dst_sel:DWORD dst_unused:UNUSED_PAD src0_sel:DWORD src1_sel:WORD_1
	;; [unrolled: 1-line block ×3, first 2 shown]
	v_fma_f16 v24, v37, v18, -v24
	v_fma_f16 v26, v41, v119, -v26
	;; [unrolled: 1-line block ×3, first 2 shown]
	v_add_f16_e32 v27, v24, v26
	v_fma_f16 v27, v27, -0.5, v6
	v_add_f16_e32 v6, v6, v24
	v_add_f16_e32 v34, v34, v32
	;; [unrolled: 1-line block ×5, first 2 shown]
	v_sub_f16_e32 v24, v24, v26
	v_pack_b32_f16 v37, v37, v41
	v_fma_f16 v20, v20, -0.5, v28
	v_fma_f16 v41, v4, s1, v5
	v_fma_f16 v4, v4, s0, v5
	;; [unrolled: 1-line block ×7, first 2 shown]
	v_mul_f16_e32 v23, -0.5, v5
	v_fma_f16 v26, v39, s0, v27
	v_mul_f16_e32 v32, 0x3aee, v30
	v_fma_f16 v23, v22, s0, v23
	v_mul_f16_e32 v22, -0.5, v22
	v_fma_f16 v32, v26, 0.5, v32
	v_mul_f16_e32 v26, 0xbaee, v26
	v_fma_f16 v5, v5, s1, v22
	v_add_f16_e32 v50, v48, v45
	v_fma_f16 v26, v30, 0.5, v26
	v_mad_legacy_u16 v30, v58, 36, v59
	v_sub_f16_e32 v6, v7, v6
	v_sub_f16_e32 v7, v21, v34
	v_add_f16_e32 v21, v20, v23
	v_add_f16_e32 v22, v4, v5
	v_pack_b32_f16 v50, v50, v51
	v_lshlrev_b32_e32 v125, 2, v30
	v_pack_b32_f16 v21, v21, v22
	v_pack_b32_f16 v6, v6, v7
	ds_write2_b32 v123, v44, v50 offset1:6
	ds_write2_b32 v125, v21, v6 offset0:12 offset1:18
	v_sub_f16_e32 v6, v28, v32
	v_sub_f16_e32 v7, v20, v23
	v_sub_f16_e32 v20, v41, v26
	v_sub_f16_e32 v4, v4, v5
	v_pack_b32_f16 v5, v6, v20
	v_pack_b32_f16 v4, v7, v4
	ds_write2_b32 v125, v5, v4 offset0:24 offset1:30
	v_lshrrev_b32_e32 v4, 16, v31
	v_mul_f16_sdwa v6, v31, v12 dst_sel:DWORD dst_unused:UNUSED_PAD src0_sel:DWORD src1_sel:WORD_1
	v_mul_f16_sdwa v5, v4, v12 dst_sel:DWORD dst_unused:UNUSED_PAD src0_sel:DWORD src1_sel:WORD_1
	v_fma_f16 v4, v4, v12, v6
	v_lshrrev_b32_e32 v6, 16, v33
	v_mul_f16_sdwa v20, v33, v13 dst_sel:DWORD dst_unused:UNUSED_PAD src0_sel:DWORD src1_sel:WORD_1
	v_mul_f16_sdwa v7, v6, v13 dst_sel:DWORD dst_unused:UNUSED_PAD src0_sel:DWORD src1_sel:WORD_1
	v_fma_f16 v6, v6, v13, v20
	;; [unrolled: 4-line block ×3, first 2 shown]
	v_lshrrev_b32_e32 v22, 16, v40
	v_mul_f16_sdwa v23, v22, v15 dst_sel:DWORD dst_unused:UNUSED_PAD src0_sel:DWORD src1_sel:WORD_1
	v_mul_f16_sdwa v24, v40, v15 dst_sel:DWORD dst_unused:UNUSED_PAD src0_sel:DWORD src1_sel:WORD_1
	v_fma_f16 v7, v33, v13, -v7
	v_fma_f16 v23, v40, v15, -v23
	v_fma_f16 v22, v22, v15, v24
	v_lshrrev_b32_e32 v24, 16, v42
	v_mul_f16_sdwa v27, v42, v118 dst_sel:DWORD dst_unused:UNUSED_PAD src0_sel:DWORD src1_sel:WORD_1
	v_add_f16_e32 v44, v28, v32
	v_add_f16_e32 v45, v41, v26
	v_mul_f16_sdwa v26, v24, v118 dst_sel:DWORD dst_unused:UNUSED_PAD src0_sel:DWORD src1_sel:WORD_1
	v_fma_f16 v24, v24, v118, v27
	v_add_f16_e32 v27, v7, v23
	v_lshrrev_b32_e32 v28, 16, v29
	v_fma_f16 v5, v31, v12, -v5
	v_fma_f16 v27, v27, -0.5, v29
	v_add_f16_e32 v29, v29, v7
	v_add_f16_e32 v30, v28, v6
	v_sub_f16_e32 v31, v6, v22
	v_add_f16_e32 v6, v6, v22
	v_fma_f16 v21, v38, v14, -v21
	v_fma_f16 v26, v42, v118, -v26
	v_add_f16_e32 v30, v30, v22
	v_fma_f16 v6, v6, -0.5, v28
	v_add_f16_e32 v22, v29, v23
	v_sub_f16_e32 v7, v7, v23
	v_add_f16_e32 v23, v4, v20
	v_sub_f16_e32 v28, v20, v24
	v_add_f16_e32 v20, v20, v24
	v_fma_f16 v4, v20, -0.5, v4
	v_add_f16_e32 v20, v21, v26
	v_fma_f16 v20, v20, -0.5, v5
	v_add_f16_e32 v5, v5, v21
	v_sub_f16_e32 v21, v21, v26
	v_add_f16_e32 v5, v5, v26
	v_fma_f16 v26, v21, s1, v4
	v_add_f16_e32 v23, v23, v24
	v_fma_f16 v24, v28, s0, v20
	v_mul_f16_e32 v29, 0x3aee, v26
	v_fma_f16 v34, v7, s1, v6
	v_fma_f16 v6, v7, s0, v6
	;; [unrolled: 1-line block ×3, first 2 shown]
	v_fma_f16 v29, v24, 0.5, v29
	v_mul_f16_e32 v24, 0xbaee, v24
	v_fma_f16 v4, v21, s0, v4
	v_mul_f16_e32 v20, -0.5, v7
	v_fma_f16 v24, v26, 0.5, v24
	v_mad_legacy_u16 v26, v60, 36, v61
	v_fma_f16 v20, v4, s0, v20
	v_mul_f16_e32 v4, -0.5, v4
	v_lshlrev_b32_e32 v126, 2, v26
	v_fma_f16 v26, v31, s1, v27
	v_fma_f16 v4, v7, s1, v4
	v_add_f16_e32 v32, v22, v5
	v_add_f16_e32 v33, v30, v23
	v_sub_f16_e32 v5, v22, v5
	v_sub_f16_e32 v7, v30, v23
	v_add_f16_e32 v21, v26, v20
	v_add_f16_e32 v22, v6, v4
	v_pack_b32_f16 v44, v44, v45
	v_pack_b32_f16 v32, v32, v33
	v_fma_f16 v33, v31, s0, v27
	v_pack_b32_f16 v21, v21, v22
	v_pack_b32_f16 v5, v5, v7
	ds_write2_b32 v125, v37, v44 offset1:6
	ds_write2_b32 v126, v21, v5 offset0:12 offset1:18
	v_sub_f16_e32 v5, v33, v29
	v_sub_f16_e32 v7, v26, v20
	;; [unrolled: 1-line block ×4, first 2 shown]
	v_pack_b32_f16 v5, v5, v20
	v_pack_b32_f16 v4, v7, v4
	ds_write2_b32 v126, v5, v4 offset0:24 offset1:30
	v_mov_b32_e32 v4, 57
	v_mul_lo_u16_sdwa v4, v97, v4 dst_sel:DWORD dst_unused:UNUSED_PAD src0_sel:BYTE_0 src1_sel:DWORD
	v_lshrrev_b16_e32 v22, 11, v4
	v_mul_lo_u16_e32 v4, 36, v22
	v_sub_u16_e32 v4, v97, v4
	v_and_b32_e32 v23, 0xff, v4
	v_mad_u64_u32 v[20:21], s[16:17], v23, 20, s[2:3]
	v_add_f16_e32 v37, v33, v29
	v_add_f16_e32 v38, v34, v24
	v_pack_b32_f16 v37, v37, v38
	ds_write2_b32 v126, v32, v37 offset1:6
	s_waitcnt lgkmcnt(0)
	s_barrier
	global_load_dwordx4 v[4:7], v[20:21], off offset:120
	global_load_dword v124, v[20:21], off offset:136
	ds_read2_b32 v[37:38], v106 offset1:144
	ds_read2_b32 v[39:40], v104 offset1:144
	;; [unrolled: 1-line block ×3, first 2 shown]
	v_mul_u32_u24_sdwa v20, v25, s13 dst_sel:DWORD dst_unused:UNUSED_PAD src0_sel:WORD_0 src1_sel:DWORD
	v_lshrrev_b32_e32 v32, 21, v20
	v_mul_lo_u16_e32 v20, 36, v32
	v_sub_u16_e32 v33, v25, v20
	s_waitcnt lgkmcnt(2)
	v_lshrrev_b32_e32 v20, 16, v37
	s_waitcnt lgkmcnt(1)
	v_lshrrev_b32_e32 v24, 16, v39
	ds_read2_b32 v[44:45], v107 offset0:64 offset1:208
	ds_read2_b32 v[46:47], v105 offset0:64 offset1:208
	;; [unrolled: 1-line block ×3, first 2 shown]
	s_waitcnt lgkmcnt(3)
	v_lshrrev_b32_e32 v26, 16, v41
	s_waitcnt vmcnt(1)
	v_mul_f16_sdwa v21, v37, v5 dst_sel:DWORD dst_unused:UNUSED_PAD src0_sel:DWORD src1_sel:WORD_1
	v_mul_f16_sdwa v25, v39, v7 dst_sel:DWORD dst_unused:UNUSED_PAD src0_sel:DWORD src1_sel:WORD_1
	v_fma_f16 v21, v20, v5, v21
	v_fma_f16 v25, v24, v7, v25
	v_add_f16_e32 v27, v26, v21
	v_sub_f16_e32 v62, v21, v25
	v_add_f16_e32 v21, v21, v25
	v_mul_f16_sdwa v20, v20, v5 dst_sel:DWORD dst_unused:UNUSED_PAD src0_sel:DWORD src1_sel:WORD_1
	v_fma_f16 v63, v21, -0.5, v26
	v_fma_f16 v20, v37, v5, -v20
	v_mul_f16_sdwa v21, v24, v7 dst_sel:DWORD dst_unused:UNUSED_PAD src0_sel:DWORD src1_sel:WORD_1
	v_fma_f16 v21, v39, v7, -v21
	v_add_f16_e32 v24, v41, v20
	v_add_f16_e32 v34, v27, v25
	v_add_f16_e32 v37, v24, v21
	v_add_f16_e32 v24, v20, v21
	v_sub_f16_e32 v39, v20, v21
	s_waitcnt lgkmcnt(2)
	v_lshrrev_b32_e32 v25, 16, v44
	v_mul_f16_sdwa v20, v44, v4 dst_sel:DWORD dst_unused:UNUSED_PAD src0_sel:DWORD src1_sel:WORD_1
	s_waitcnt lgkmcnt(1)
	v_lshrrev_b32_e32 v26, 16, v46
	v_mul_f16_sdwa v21, v46, v6 dst_sel:DWORD dst_unused:UNUSED_PAD src0_sel:DWORD src1_sel:WORD_1
	s_waitcnt lgkmcnt(0)
	v_lshrrev_b32_e32 v27, 16, v48
	s_waitcnt vmcnt(0)
	v_mul_f16_sdwa v28, v48, v124 dst_sel:DWORD dst_unused:UNUSED_PAD src0_sel:DWORD src1_sel:WORD_1
	v_fma_f16 v20, v25, v4, v20
	v_fma_f16 v21, v26, v6, v21
	;; [unrolled: 1-line block ×3, first 2 shown]
	v_add_f16_e32 v29, v20, v21
	v_sub_f16_e32 v65, v21, v28
	v_add_f16_e32 v21, v21, v28
	v_fma_f16 v66, v21, -0.5, v20
	v_mul_u32_u24_sdwa v20, v43, s13 dst_sel:DWORD dst_unused:UNUSED_PAD src0_sel:WORD_0 src1_sel:DWORD
	v_lshrrev_b32_e32 v67, 21, v20
	v_mul_lo_u16_e32 v20, 36, v67
	v_sub_u16_e32 v131, v43, v20
	v_mul_lo_u16_e32 v20, 20, v131
	v_add_co_u32_e32 v20, vcc, s2, v20
	v_addc_co_u32_e32 v21, vcc, 0, v36, vcc
	v_add_f16_e32 v64, v29, v28
	global_load_dword v129, v[20:21], off offset:136
	global_load_dwordx4 v[28:31], v[20:21], off offset:120
	v_mul_f16_sdwa v20, v25, v4 dst_sel:DWORD dst_unused:UNUSED_PAD src0_sel:DWORD src1_sel:WORD_1
	v_mul_f16_sdwa v21, v26, v6 dst_sel:DWORD dst_unused:UNUSED_PAD src0_sel:DWORD src1_sel:WORD_1
	;; [unrolled: 1-line block ×3, first 2 shown]
	v_fma_f16 v21, v46, v6, -v21
	v_fma_f16 v25, v48, v124, -v25
	;; [unrolled: 1-line block ×3, first 2 shown]
	v_add_f16_e32 v26, v21, v25
	v_sub_f16_e32 v48, v21, v25
	v_fma_f16 v44, v26, -0.5, v20
	v_add_f16_e32 v20, v20, v21
	v_fma_f16 v21, v48, s1, v66
	v_add_f16_e32 v46, v20, v25
	v_fma_f16 v20, v65, s0, v44
	v_mul_f16_e32 v25, 0x3aee, v21
	v_fma_f16 v132, v20, 0.5, v25
	v_mul_f16_e32 v20, 0xbaee, v20
	v_fma_f16 v133, v21, 0.5, v20
	v_mul_u32_u24_e32 v20, 0xd8, v22
	v_fma_f16 v41, v24, -0.5, v41
	v_add_lshl_u32 v130, v20, v23, 2
	v_add_f16_e32 v20, v37, v46
	v_add_f16_e32 v21, v34, v64
	v_fma_f16 v135, v62, s0, v41
	v_fma_f16 v136, v39, s1, v63
	v_mul_u32_u24_sdwa v22, v35, s13 dst_sel:DWORD dst_unused:UNUSED_PAD src0_sel:WORD_0 src1_sel:DWORD
	v_pack_b32_f16 v134, v20, v21
	v_add_f16_e32 v20, v135, v132
	v_add_f16_e32 v21, v136, v133
	v_lshrrev_b32_e32 v138, 21, v22
	v_pack_b32_f16 v137, v20, v21
	v_mul_lo_u16_e32 v20, 20, v33
	v_mul_lo_u16_e32 v22, 36, v138
	v_add_co_u32_e32 v20, vcc, s2, v20
	v_sub_u16_e32 v139, v35, v22
	v_addc_co_u32_e32 v21, vcc, 0, v36, vcc
	v_mul_lo_u16_e32 v22, 20, v139
	v_add_co_u32_e32 v22, vcc, s2, v22
	v_addc_co_u32_e32 v23, vcc, 0, v36, vcc
	global_load_dword v128, v[20:21], off offset:136
	global_load_dwordx4 v[24:27], v[20:21], off offset:120
	global_load_dword v127, v[22:23], off offset:136
                                        ; kill: killed $vgpr20 killed $vgpr21
	s_nop 0
	global_load_dwordx4 v[20:23], v[22:23], off offset:120
	v_fma_f16 v44, v65, s1, v44
	v_fma_f16 v41, v62, s1, v41
	;; [unrolled: 1-line block ×3, first 2 shown]
	v_mul_f16_e32 v62, -0.5, v44
	v_fma_f16 v62, v48, s0, v62
	v_mul_f16_e32 v48, -0.5, v48
	v_fma_f16 v39, v39, s0, v63
	v_fma_f16 v44, v44, s1, v48
	v_sub_f16_e32 v37, v37, v46
	v_sub_f16_e32 v34, v34, v64
	v_add_f16_e32 v46, v41, v62
	v_add_f16_e32 v48, v39, v44
	v_pack_b32_f16 v46, v46, v48
	v_pack_b32_f16 v34, v37, v34
	ds_read2_b32 v[50:51], v88 offset0:32 offset1:176
	ds_read2_b32 v[52:53], v87 offset0:96 offset1:240
	;; [unrolled: 1-line block ×6, first 2 shown]
	s_waitcnt vmcnt(0) lgkmcnt(0)
	s_barrier
	ds_write2_b32 v130, v46, v34 offset0:72 offset1:108
	v_sub_f16_e32 v34, v135, v132
	v_sub_f16_e32 v37, v41, v62
	;; [unrolled: 1-line block ×4, first 2 shown]
	v_pack_b32_f16 v34, v34, v41
	v_pack_b32_f16 v37, v37, v39
	ds_write2_b32 v130, v34, v37 offset0:144 offset1:180
	v_lshrrev_b32_e32 v34, 16, v45
	s_movk_i32 s13, 0xd8
	ds_write2_b32 v130, v134, v137 offset1:36
	v_mad_legacy_u16 v32, v32, s13, v33
	v_lshlrev_b32_e32 v132, 2, v32
	v_add_u32_e32 v137, 0xe80, v100
	v_mul_f16_sdwa v48, v49, v129 dst_sel:DWORD dst_unused:UNUSED_PAD src0_sel:DWORD src1_sel:WORD_1
	v_mul_f16_sdwa v39, v45, v28 dst_sel:DWORD dst_unused:UNUSED_PAD src0_sel:DWORD src1_sel:WORD_1
	;; [unrolled: 1-line block ×3, first 2 shown]
	v_fma_f16 v34, v34, v28, v39
	v_lshrrev_b32_e32 v39, 16, v38
	v_mul_f16_sdwa v41, v39, v29 dst_sel:DWORD dst_unused:UNUSED_PAD src0_sel:DWORD src1_sel:WORD_1
	v_fma_f16 v41, v38, v29, -v41
	v_mul_f16_sdwa v38, v38, v29 dst_sel:DWORD dst_unused:UNUSED_PAD src0_sel:DWORD src1_sel:WORD_1
	v_fma_f16 v37, v45, v28, -v37
	v_fma_f16 v38, v39, v29, v38
	v_lshrrev_b32_e32 v39, 16, v47
	v_mul_f16_sdwa v45, v47, v30 dst_sel:DWORD dst_unused:UNUSED_PAD src0_sel:DWORD src1_sel:WORD_1
	v_mul_f16_sdwa v44, v39, v30 dst_sel:DWORD dst_unused:UNUSED_PAD src0_sel:DWORD src1_sel:WORD_1
	v_fma_f16 v39, v39, v30, v45
	v_lshrrev_b32_e32 v45, 16, v40
	v_mul_f16_sdwa v46, v45, v31 dst_sel:DWORD dst_unused:UNUSED_PAD src0_sel:DWORD src1_sel:WORD_1
	v_fma_f16 v46, v40, v31, -v46
	v_mul_f16_sdwa v40, v40, v31 dst_sel:DWORD dst_unused:UNUSED_PAD src0_sel:DWORD src1_sel:WORD_1
	v_fma_f16 v40, v45, v31, v40
	v_lshrrev_b32_e32 v45, 16, v49
	v_fma_f16 v44, v47, v30, -v44
	v_mul_f16_sdwa v47, v45, v129 dst_sel:DWORD dst_unused:UNUSED_PAD src0_sel:DWORD src1_sel:WORD_1
	v_fma_f16 v47, v49, v129, -v47
	v_fma_f16 v45, v45, v129, v48
	v_add_f16_e32 v48, v41, v46
	v_lshrrev_b32_e32 v49, 16, v42
	v_fma_f16 v48, v48, -0.5, v42
	v_add_f16_e32 v42, v42, v41
	v_add_f16_e32 v62, v49, v38
	;; [unrolled: 1-line block ×3, first 2 shown]
	v_sub_f16_e32 v63, v38, v40
	v_add_f16_e32 v38, v38, v40
	v_add_f16_e32 v40, v42, v46
	v_sub_f16_e32 v41, v41, v46
	v_add_f16_e32 v42, v34, v39
	v_sub_f16_e32 v46, v39, v45
	v_add_f16_e32 v39, v39, v45
	v_fma_f16 v34, v39, -0.5, v34
	v_add_f16_e32 v39, v44, v47
	v_fma_f16 v39, v39, -0.5, v37
	v_add_f16_e32 v37, v37, v44
	v_sub_f16_e32 v44, v44, v47
	v_add_f16_e32 v37, v37, v47
	v_fma_f16 v47, v44, s1, v34
	v_fma_f16 v38, v38, -0.5, v49
	v_add_f16_e32 v42, v42, v45
	v_fma_f16 v45, v46, s0, v39
	v_mul_f16_e32 v49, 0x3aee, v47
	v_fma_f16 v49, v45, 0.5, v49
	v_mul_f16_e32 v45, 0xbaee, v45
	v_add_f16_e32 v64, v40, v37
	v_add_f16_e32 v65, v62, v42
	v_fma_f16 v39, v46, s1, v39
	v_fma_f16 v45, v47, 0.5, v45
	v_pack_b32_f16 v64, v64, v65
	v_fma_f16 v65, v63, s0, v48
	v_fma_f16 v66, v41, s1, v38
	v_fma_f16 v38, v41, s0, v38
	v_fma_f16 v34, v44, s0, v34
	v_mul_f16_e32 v41, -0.5, v39
	v_mad_legacy_u16 v47, v67, s13, v131
	v_add_f16_e32 v67, v65, v49
	v_add_f16_e32 v131, v66, v45
	v_fma_f16 v41, v34, s0, v41
	v_mul_f16_e32 v34, -0.5, v34
	v_pack_b32_f16 v67, v67, v131
	v_lshlrev_b32_e32 v131, 2, v47
	v_fma_f16 v47, v63, s1, v48
	v_fma_f16 v34, v39, s1, v34
	v_sub_f16_e32 v37, v40, v37
	v_sub_f16_e32 v39, v62, v42
	v_add_f16_e32 v40, v47, v41
	v_add_f16_e32 v42, v38, v34
	v_pack_b32_f16 v40, v40, v42
	v_pack_b32_f16 v37, v37, v39
	ds_write2_b32 v131, v40, v37 offset0:72 offset1:108
	v_sub_f16_e32 v37, v65, v49
	v_sub_f16_e32 v39, v47, v41
	;; [unrolled: 1-line block ×4, first 2 shown]
	v_pack_b32_f16 v37, v37, v40
	v_pack_b32_f16 v34, v39, v34
	ds_write2_b32 v131, v37, v34 offset0:144 offset1:180
	v_lshrrev_b32_e32 v34, 16, v54
	v_mul_f16_sdwa v37, v54, v25 dst_sel:DWORD dst_unused:UNUSED_PAD src0_sel:DWORD src1_sel:WORD_1
	v_fma_f16 v37, v34, v25, v37
	v_lshrrev_b32_e32 v38, 16, v58
	v_mul_f16_sdwa v39, v58, v27 dst_sel:DWORD dst_unused:UNUSED_PAD src0_sel:DWORD src1_sel:WORD_1
	v_lshrrev_b32_e32 v40, 16, v50
	v_mul_f16_sdwa v34, v34, v25 dst_sel:DWORD dst_unused:UNUSED_PAD src0_sel:DWORD src1_sel:WORD_1
	v_fma_f16 v39, v38, v27, v39
	v_add_f16_e32 v41, v40, v37
	v_fma_f16 v34, v54, v25, -v34
	v_mul_f16_sdwa v38, v38, v27 dst_sel:DWORD dst_unused:UNUSED_PAD src0_sel:DWORD src1_sel:WORD_1
	v_add_f16_e32 v41, v41, v39
	v_sub_f16_e32 v42, v37, v39
	v_add_f16_e32 v37, v37, v39
	v_fma_f16 v38, v58, v27, -v38
	v_add_f16_e32 v39, v50, v34
	v_fma_f16 v37, v37, -0.5, v40
	v_add_f16_e32 v39, v39, v38
	v_add_f16_e32 v40, v34, v38
	v_sub_f16_e32 v34, v34, v38
	v_lshrrev_b32_e32 v38, 16, v52
	v_mul_f16_sdwa v44, v52, v24 dst_sel:DWORD dst_unused:UNUSED_PAD src0_sel:DWORD src1_sel:WORD_1
	v_lshrrev_b32_e32 v45, 16, v56
	v_mul_f16_sdwa v46, v56, v26 dst_sel:DWORD dst_unused:UNUSED_PAD src0_sel:DWORD src1_sel:WORD_1
	;; [unrolled: 2-line block ×3, first 2 shown]
	v_fma_f16 v44, v38, v24, v44
	v_fma_f16 v46, v45, v26, v46
	;; [unrolled: 1-line block ×3, first 2 shown]
	v_add_f16_e32 v49, v44, v46
	v_sub_f16_e32 v54, v46, v48
	v_add_f16_e32 v46, v46, v48
	v_fma_f16 v44, v46, -0.5, v44
	v_mul_f16_sdwa v45, v45, v26 dst_sel:DWORD dst_unused:UNUSED_PAD src0_sel:DWORD src1_sel:WORD_1
	v_mul_f16_sdwa v46, v47, v128 dst_sel:DWORD dst_unused:UNUSED_PAD src0_sel:DWORD src1_sel:WORD_1
	;; [unrolled: 1-line block ×3, first 2 shown]
	v_fma_f16 v45, v56, v26, -v45
	v_fma_f16 v46, v60, v128, -v46
	;; [unrolled: 1-line block ×3, first 2 shown]
	v_add_f16_e32 v47, v45, v46
	v_fma_f16 v47, v47, -0.5, v38
	v_add_f16_e32 v38, v38, v45
	v_sub_f16_e32 v45, v45, v46
	v_add_f16_e32 v49, v49, v48
	v_fma_f16 v48, v45, s1, v44
	v_add_f16_e32 v38, v38, v46
	v_fma_f16 v46, v54, s0, v47
	v_mul_f16_e32 v52, 0x3aee, v48
	v_fma_f16 v52, v46, 0.5, v52
	v_mul_f16_e32 v46, 0xbaee, v46
	v_fma_f16 v46, v48, 0.5, v46
	v_add_f16_e32 v33, v39, v38
	v_add_f16_e32 v48, v41, v49
	v_fma_f16 v40, v40, -0.5, v50
	v_pack_b32_f16 v33, v33, v48
	v_fma_f16 v48, v42, s0, v40
	v_fma_f16 v50, v34, s1, v37
	v_add_f16_e32 v56, v48, v52
	v_add_f16_e32 v58, v50, v46
	v_pack_b32_f16 v56, v56, v58
	ds_write2_b32 v131, v64, v67 offset1:36
	ds_write2_b32 v132, v33, v56 offset1:36
	v_fma_f16 v33, v34, s0, v37
	v_fma_f16 v34, v54, s1, v47
	;; [unrolled: 1-line block ×4, first 2 shown]
	v_mul_f16_e32 v40, -0.5, v34
	v_fma_f16 v40, v37, s0, v40
	v_mul_f16_e32 v37, -0.5, v37
	v_fma_f16 v34, v34, s1, v37
	v_sub_f16_e32 v37, v39, v38
	v_sub_f16_e32 v38, v41, v49
	v_add_f16_e32 v39, v32, v40
	v_add_f16_e32 v41, v33, v34
	v_pack_b32_f16 v39, v39, v41
	v_pack_b32_f16 v37, v37, v38
	ds_write2_b32 v132, v39, v37 offset0:72 offset1:108
	v_sub_f16_e32 v37, v48, v52
	v_sub_f16_e32 v32, v32, v40
	v_sub_f16_e32 v38, v50, v46
	v_sub_f16_e32 v33, v33, v34
	v_pack_b32_f16 v34, v37, v38
	v_pack_b32_f16 v32, v32, v33
	ds_write2_b32 v132, v34, v32 offset0:144 offset1:180
	v_lshrrev_b32_e32 v32, 16, v53
	v_mul_f16_sdwa v34, v53, v20 dst_sel:DWORD dst_unused:UNUSED_PAD src0_sel:DWORD src1_sel:WORD_1
	v_mul_f16_sdwa v33, v32, v20 dst_sel:DWORD dst_unused:UNUSED_PAD src0_sel:DWORD src1_sel:WORD_1
	v_fma_f16 v32, v32, v20, v34
	v_lshrrev_b32_e32 v34, 16, v55
	v_mul_f16_sdwa v38, v55, v21 dst_sel:DWORD dst_unused:UNUSED_PAD src0_sel:DWORD src1_sel:WORD_1
	v_mul_f16_sdwa v37, v34, v21 dst_sel:DWORD dst_unused:UNUSED_PAD src0_sel:DWORD src1_sel:WORD_1
	v_fma_f16 v34, v34, v21, v38
	;; [unrolled: 4-line block ×3, first 2 shown]
	v_lshrrev_b32_e32 v40, 16, v59
	v_mul_f16_sdwa v42, v59, v23 dst_sel:DWORD dst_unused:UNUSED_PAD src0_sel:DWORD src1_sel:WORD_1
	v_fma_f16 v37, v55, v21, -v37
	v_mul_f16_sdwa v41, v40, v23 dst_sel:DWORD dst_unused:UNUSED_PAD src0_sel:DWORD src1_sel:WORD_1
	v_fma_f16 v40, v40, v23, v42
	v_lshrrev_b32_e32 v42, 16, v61
	v_mul_f16_sdwa v45, v61, v127 dst_sel:DWORD dst_unused:UNUSED_PAD src0_sel:DWORD src1_sel:WORD_1
	v_lshrrev_b32_e32 v46, 16, v51
	v_fma_f16 v41, v59, v23, -v41
	v_mul_f16_sdwa v44, v42, v127 dst_sel:DWORD dst_unused:UNUSED_PAD src0_sel:DWORD src1_sel:WORD_1
	v_fma_f16 v42, v42, v127, v45
	v_add_f16_e32 v47, v51, v37
	v_add_f16_e32 v48, v46, v34
	v_sub_f16_e32 v49, v34, v40
	v_add_f16_e32 v34, v34, v40
	v_fma_f16 v39, v57, v22, -v39
	v_fma_f16 v44, v61, v127, -v44
	v_add_f16_e32 v45, v37, v41
	v_add_f16_e32 v48, v48, v40
	v_fma_f16 v34, v34, -0.5, v46
	v_add_f16_e32 v40, v47, v41
	v_sub_f16_e32 v37, v37, v41
	v_add_f16_e32 v41, v32, v38
	v_sub_f16_e32 v46, v38, v42
	v_add_f16_e32 v38, v38, v42
	v_fma_f16 v33, v53, v20, -v33
	v_fma_f16 v32, v38, -0.5, v32
	v_add_f16_e32 v38, v39, v44
	v_fma_f16 v38, v38, -0.5, v33
	v_add_f16_e32 v33, v33, v39
	v_sub_f16_e32 v39, v39, v44
	v_add_f16_e32 v33, v33, v44
	v_fma_f16 v44, v39, s1, v32
	v_add_f16_e32 v41, v41, v42
	v_fma_f16 v42, v46, s0, v38
	v_mul_f16_e32 v47, 0x3aee, v44
	v_fma_f16 v52, v37, s1, v34
	v_fma_f16 v34, v37, s0, v34
	;; [unrolled: 1-line block ×3, first 2 shown]
	v_fma_f16 v47, v42, 0.5, v47
	v_mul_f16_e32 v42, 0xbaee, v42
	v_fma_f16 v32, v39, s0, v32
	v_mul_f16_e32 v38, -0.5, v37
	v_fma_f16 v45, v45, -0.5, v51
	v_fma_f16 v42, v44, 0.5, v42
	v_mad_legacy_u16 v44, v138, s13, v139
	v_fma_f16 v38, v32, s0, v38
	v_mul_f16_e32 v32, -0.5, v32
	v_add_f16_e32 v50, v40, v33
	v_lshlrev_b32_e32 v133, 2, v44
	v_fma_f16 v44, v49, s1, v45
	v_fma_f16 v32, v37, s1, v32
	v_sub_f16_e32 v33, v40, v33
	v_sub_f16_e32 v37, v48, v41
	v_add_f16_e32 v51, v48, v41
	v_add_f16_e32 v54, v52, v42
	;; [unrolled: 1-line block ×4, first 2 shown]
	v_pack_b32_f16 v33, v33, v37
	v_sub_f16_e32 v37, v44, v38
	v_sub_f16_e32 v38, v52, v42
	v_mad_u64_u32 v[41:42], s[16:17], v97, 12, s[2:3]
	v_pack_b32_f16 v50, v50, v51
	v_fma_f16 v51, v49, s0, v45
	v_pack_b32_f16 v39, v39, v40
	v_add_f16_e32 v53, v51, v47
	ds_write2_b32 v133, v39, v33 offset0:72 offset1:108
	v_sub_f16_e32 v33, v51, v47
	v_sub_f16_e32 v32, v34, v32
	v_pack_b32_f16 v53, v53, v54
	v_pack_b32_f16 v33, v33, v38
	;; [unrolled: 1-line block ×3, first 2 shown]
	ds_write2_b32 v133, v50, v53 offset1:36
	ds_write2_b32 v133, v33, v32 offset0:144 offset1:180
	s_waitcnt lgkmcnt(0)
	s_barrier
	global_load_dwordx3 v[32:34], v[41:42], off offset:840
	s_movk_i32 s13, 0x48
	v_add_u32_e32 v37, 0xffffffb8, v97
	v_cmp_gt_u16_e32 vcc, s13, v97
	v_cndmask_b32_e32 v46, v37, v43, vcc
	v_mul_i32_i24_e32 v37, 12, v46
	v_mul_hi_i32_i24_e32 v38, 12, v46
	v_add_co_u32_e32 v37, vcc, s2, v37
	v_addc_co_u32_e32 v38, vcc, v36, v38, vcc
	global_load_dwordx3 v[53:55], v[37:38], off offset:840
	v_lshrrev_b16_e32 v39, 3, v35
	v_mul_u32_u24_e32 v39, 0x12f7, v39
	v_lshrrev_b32_e32 v39, 17, v39
	v_mul_lo_u16_e32 v39, 0xd8, v39
	v_sub_u16_e32 v140, v35, v39
	v_add_u16_e32 v35, 0x240, v97
	ds_read2_b32 v[44:45], v87 offset0:96 offset1:240
	v_lshrrev_b16_e32 v39, 3, v35
	v_mul_u32_u24_e32 v39, 0x12f7, v39
	ds_read2_b32 v[56:57], v105 offset0:64 offset1:208
	v_lshrrev_b32_e32 v141, 17, v39
	v_mul_lo_u16_e32 v39, 0xd8, v141
	ds_read2_b32 v[58:59], v83 offset0:32 offset1:176
	v_sub_u16_e32 v150, v35, v39
	v_add_u16_e32 v35, 0x2d0, v97
	s_waitcnt lgkmcnt(2)
	v_lshrrev_b32_e32 v50, 16, v44
	v_lshrrev_b16_e32 v37, 3, v35
	ds_read2_b32 v[60:61], v100 offset1:144
	v_mul_u32_u24_e32 v37, 0x12f7, v37
	global_load_dwordx3 v[47:49], v[41:42], off offset:1704
	v_lshrrev_b32_e32 v37, 17, v37
	v_mul_lo_u16_e32 v37, 0xd8, v37
	v_sub_u16_e32 v151, v35, v37
	v_mul_lo_u16_e32 v35, 12, v140
	v_add_co_u32_e32 v37, vcc, s2, v35
	v_addc_co_u32_e32 v38, vcc, 0, v36, vcc
	v_mul_lo_u16_e32 v35, 12, v150
	v_add_co_u32_e32 v39, vcc, s2, v35
	v_addc_co_u32_e32 v40, vcc, 0, v36, vcc
	;; [unrolled: 3-line block ×3, first 2 shown]
	s_movk_i32 s13, 0x47
	v_cmp_lt_u16_e32 vcc, s13, v97
	s_movk_i32 s13, 0x360
	s_waitcnt vmcnt(2)
	v_mul_f16_sdwa v51, v44, v32 dst_sel:DWORD dst_unused:UNUSED_PAD src0_sel:DWORD src1_sel:WORD_1
	v_fma_f16 v51, v50, v32, v51
	v_mul_f16_sdwa v50, v50, v32 dst_sel:DWORD dst_unused:UNUSED_PAD src0_sel:DWORD src1_sel:WORD_1
	v_fma_f16 v44, v44, v32, -v50
	s_waitcnt lgkmcnt(2)
	v_lshrrev_b32_e32 v50, 16, v56
	v_mul_f16_sdwa v52, v56, v33 dst_sel:DWORD dst_unused:UNUSED_PAD src0_sel:DWORD src1_sel:WORD_1
	v_fma_f16 v52, v50, v33, v52
	v_mul_f16_sdwa v50, v50, v33 dst_sel:DWORD dst_unused:UNUSED_PAD src0_sel:DWORD src1_sel:WORD_1
	v_fma_f16 v50, v56, v33, -v50
	s_waitcnt lgkmcnt(1)
	v_lshrrev_b32_e32 v56, 16, v58
	;; [unrolled: 6-line block ×3, first 2 shown]
	v_sub_f16_e32 v50, v60, v50
	v_sub_f16_e32 v52, v58, v52
	;; [unrolled: 1-line block ×4, first 2 shown]
	v_fma_f16 v58, v58, 2.0, -v52
	v_fma_f16 v44, v44, 2.0, -v56
	;; [unrolled: 1-line block ×4, first 2 shown]
	v_sub_f16_e32 v44, v60, v44
	v_sub_f16_e32 v134, v58, v51
	v_fma_f16 v51, v60, 2.0, -v44
	v_fma_f16 v58, v58, 2.0, -v134
	v_sub_f16_e32 v60, v50, v62
	v_add_f16_e32 v56, v52, v56
	v_pack_b32_f16 v58, v51, v58
	v_fma_f16 v50, v50, 2.0, -v60
	v_fma_f16 v51, v52, 2.0, -v56
	v_pack_b32_f16 v135, v50, v51
	global_load_dwordx3 v[50:52], v[37:38], off offset:840
	s_nop 0
	global_load_dwordx3 v[38:40], v[39:40], off offset:840
	s_nop 0
	global_load_dwordx3 v[35:37], v[35:36], off offset:840
	v_pack_b32_f16 v44, v44, v134
	v_pack_b32_f16 v56, v60, v56
	v_add_u32_e32 v134, 0x680, v100
	ds_read2_b32 v[62:63], v88 offset0:32 offset1:176
	ds_read2_b32 v[64:65], v106 offset1:144
	ds_read2_b32 v[66:67], v82 offset0:96 offset1:240
	ds_read2_b32 v[138:139], v102 offset0:64 offset1:208
	;; [unrolled: 1-line block ×4, first 2 shown]
	ds_read2_b32 v[146:147], v104 offset1:144
	ds_read2_b32 v[148:149], v81 offset0:96 offset1:240
	s_waitcnt vmcnt(0) lgkmcnt(0)
	s_barrier
	ds_write2_b32 v100, v58, v135 offset1:216
	ds_write2_b32 v134, v44, v56 offset0:16 offset1:232
	v_lshrrev_b32_e32 v44, 16, v45
	v_mul_f16_sdwa v56, v44, v53 dst_sel:DWORD dst_unused:UNUSED_PAD src0_sel:DWORD src1_sel:WORD_1
	v_fma_f16 v56, v45, v53, -v56
	v_mul_f16_sdwa v45, v45, v53 dst_sel:DWORD dst_unused:UNUSED_PAD src0_sel:DWORD src1_sel:WORD_1
	v_fma_f16 v44, v44, v53, v45
	v_lshrrev_b32_e32 v45, 16, v57
	v_mul_f16_sdwa v58, v45, v54 dst_sel:DWORD dst_unused:UNUSED_PAD src0_sel:DWORD src1_sel:WORD_1
	v_fma_f16 v58, v57, v54, -v58
	v_mul_f16_sdwa v57, v57, v54 dst_sel:DWORD dst_unused:UNUSED_PAD src0_sel:DWORD src1_sel:WORD_1
	v_fma_f16 v45, v45, v54, v57
	;; [unrolled: 5-line block ×3, first 2 shown]
	v_lshrrev_b32_e32 v59, 16, v61
	v_mov_b32_e32 v135, 0x360
	v_cndmask_b32_e32 v135, 0, v135, vcc
	v_sub_f16_e32 v45, v59, v45
	v_sub_f16_e32 v58, v61, v58
	v_add_lshl_u32 v135, v46, v135, 2
	v_fma_f16 v46, v59, 2.0, -v45
	v_sub_f16_e32 v59, v56, v60
	v_sub_f16_e32 v57, v44, v57
	v_fma_f16 v61, v61, 2.0, -v58
	v_fma_f16 v56, v56, 2.0, -v59
	;; [unrolled: 1-line block ×3, first 2 shown]
	v_sub_f16_e32 v56, v61, v56
	v_sub_f16_e32 v44, v46, v44
	;; [unrolled: 1-line block ×3, first 2 shown]
	v_add_f16_e32 v59, v45, v59
	v_fma_f16 v60, v61, 2.0, -v56
	v_fma_f16 v46, v46, 2.0, -v44
	;; [unrolled: 1-line block ×4, first 2 shown]
	v_pack_b32_f16 v46, v60, v46
	v_pack_b32_f16 v45, v58, v45
	ds_write2_b32 v135, v46, v45 offset1:216
	v_pack_b32_f16 v44, v56, v44
	v_pack_b32_f16 v45, v57, v59
	v_add_u32_e32 v136, 0x680, v135
	ds_write2_b32 v136, v44, v45 offset0:16 offset1:232
	v_lshrrev_b32_e32 v44, 16, v64
	v_mul_f16_sdwa v45, v64, v47 dst_sel:DWORD dst_unused:UNUSED_PAD src0_sel:DWORD src1_sel:WORD_1
	v_lshrrev_b32_e32 v46, 16, v66
	v_mul_f16_sdwa v56, v66, v48 dst_sel:DWORD dst_unused:UNUSED_PAD src0_sel:DWORD src1_sel:WORD_1
	v_lshrrev_b32_e32 v57, 16, v138
	v_mul_f16_sdwa v58, v138, v49 dst_sel:DWORD dst_unused:UNUSED_PAD src0_sel:DWORD src1_sel:WORD_1
	v_fma_f16 v45, v44, v47, v45
	v_mul_f16_sdwa v44, v44, v47 dst_sel:DWORD dst_unused:UNUSED_PAD src0_sel:DWORD src1_sel:WORD_1
	v_fma_f16 v56, v46, v48, v56
	v_mul_f16_sdwa v46, v46, v48 dst_sel:DWORD dst_unused:UNUSED_PAD src0_sel:DWORD src1_sel:WORD_1
	;; [unrolled: 2-line block ×3, first 2 shown]
	v_fma_f16 v44, v64, v47, -v44
	v_fma_f16 v46, v66, v48, -v46
	;; [unrolled: 1-line block ×3, first 2 shown]
	v_lshrrev_b32_e32 v59, 16, v62
	v_sub_f16_e32 v46, v62, v46
	v_sub_f16_e32 v56, v59, v56
	;; [unrolled: 1-line block ×4, first 2 shown]
	v_fma_f16 v59, v59, 2.0, -v56
	v_fma_f16 v44, v44, 2.0, -v57
	;; [unrolled: 1-line block ×4, first 2 shown]
	v_sub_f16_e32 v44, v60, v44
	v_sub_f16_e32 v45, v59, v45
	;; [unrolled: 1-line block ×3, first 2 shown]
	v_add_f16_e32 v57, v56, v57
	v_fma_f16 v60, v60, 2.0, -v44
	v_fma_f16 v59, v59, 2.0, -v45
	;; [unrolled: 1-line block ×4, first 2 shown]
	v_pack_b32_f16 v59, v60, v59
	v_pack_b32_f16 v46, v46, v56
	;; [unrolled: 1-line block ×4, first 2 shown]
	v_add_u32_e32 v138, 0x1500, v100
	ds_write2_b32 v137, v59, v46 offset0:8 offset1:224
	ds_write2_b32 v138, v44, v45 offset0:24 offset1:240
	v_lshrrev_b32_e32 v44, 16, v65
	v_mul_f16_sdwa v46, v65, v50 dst_sel:DWORD dst_unused:UNUSED_PAD src0_sel:DWORD src1_sel:WORD_1
	v_mul_f16_sdwa v45, v44, v50 dst_sel:DWORD dst_unused:UNUSED_PAD src0_sel:DWORD src1_sel:WORD_1
	v_fma_f16 v44, v44, v50, v46
	v_lshrrev_b32_e32 v46, 16, v67
	v_mul_f16_sdwa v57, v67, v51 dst_sel:DWORD dst_unused:UNUSED_PAD src0_sel:DWORD src1_sel:WORD_1
	v_mul_f16_sdwa v56, v46, v51 dst_sel:DWORD dst_unused:UNUSED_PAD src0_sel:DWORD src1_sel:WORD_1
	v_fma_f16 v46, v46, v51, v57
	v_lshrrev_b32_e32 v57, 16, v139
	v_mul_f16_sdwa v58, v57, v52 dst_sel:DWORD dst_unused:UNUSED_PAD src0_sel:DWORD src1_sel:WORD_1
	v_mul_f16_sdwa v59, v139, v52 dst_sel:DWORD dst_unused:UNUSED_PAD src0_sel:DWORD src1_sel:WORD_1
	v_fma_f16 v45, v65, v50, -v45
	v_fma_f16 v56, v67, v51, -v56
	;; [unrolled: 1-line block ×3, first 2 shown]
	v_fma_f16 v57, v57, v52, v59
	v_lshrrev_b32_e32 v59, 16, v63
	v_sub_f16_e32 v56, v63, v56
	v_sub_f16_e32 v46, v59, v46
	;; [unrolled: 1-line block ×4, first 2 shown]
	v_fma_f16 v60, v63, 2.0, -v56
	v_fma_f16 v59, v59, 2.0, -v46
	;; [unrolled: 1-line block ×4, first 2 shown]
	v_sub_f16_e32 v57, v56, v57
	v_add_f16_e32 v58, v46, v58
	v_sub_f16_e32 v45, v60, v45
	v_sub_f16_e32 v44, v59, v44
	v_fma_f16 v56, v56, 2.0, -v57
	v_fma_f16 v46, v46, 2.0, -v58
	;; [unrolled: 1-line block ×4, first 2 shown]
	v_pack_b32_f16 v46, v56, v46
	v_lshlrev_b32_e32 v56, 2, v140
	v_pack_b32_f16 v59, v60, v59
	v_add_u32_e32 v139, 0x1b00, v56
	v_pack_b32_f16 v44, v45, v44
	v_pack_b32_f16 v45, v57, v58
	v_add_u32_e32 v140, 0x2180, v56
	ds_write2_b32 v139, v59, v46 offset1:216
	ds_write2_b32 v140, v44, v45 offset0:16 offset1:232
	v_lshrrev_b32_e32 v45, 16, v144
	v_mul_f16_sdwa v46, v144, v38 dst_sel:DWORD dst_unused:UNUSED_PAD src0_sel:DWORD src1_sel:WORD_1
	v_lshrrev_b32_e32 v56, 16, v146
	v_mul_f16_sdwa v57, v146, v39 dst_sel:DWORD dst_unused:UNUSED_PAD src0_sel:DWORD src1_sel:WORD_1
	;; [unrolled: 2-line block ×3, first 2 shown]
	v_fma_f16 v46, v45, v38, v46
	v_mul_f16_sdwa v45, v45, v38 dst_sel:DWORD dst_unused:UNUSED_PAD src0_sel:DWORD src1_sel:WORD_1
	v_fma_f16 v57, v56, v39, v57
	v_mul_f16_sdwa v56, v56, v39 dst_sel:DWORD dst_unused:UNUSED_PAD src0_sel:DWORD src1_sel:WORD_1
	;; [unrolled: 2-line block ×3, first 2 shown]
	v_fma_f16 v45, v144, v38, -v45
	v_fma_f16 v56, v146, v39, -v56
	;; [unrolled: 1-line block ×3, first 2 shown]
	v_lshrrev_b32_e32 v60, 16, v142
	v_sub_f16_e32 v56, v142, v56
	v_sub_f16_e32 v57, v60, v57
	;; [unrolled: 1-line block ×4, first 2 shown]
	v_mad_legacy_u16 v44, v141, s13, v150
	v_fma_f16 v60, v60, 2.0, -v57
	v_fma_f16 v45, v45, 2.0, -v58
	;; [unrolled: 1-line block ×4, first 2 shown]
	v_sub_f16_e32 v45, v61, v45
	v_sub_f16_e32 v46, v60, v46
	;; [unrolled: 1-line block ×3, first 2 shown]
	v_add_f16_e32 v58, v57, v58
	v_lshlrev_b32_e32 v141, 2, v44
	v_fma_f16 v61, v61, 2.0, -v45
	v_pack_b32_f16 v44, v45, v46
	v_pack_b32_f16 v45, v59, v58
	v_add_u32_e32 v142, 0x680, v141
	v_fma_f16 v60, v60, 2.0, -v46
	v_fma_f16 v56, v56, 2.0, -v59
	;; [unrolled: 1-line block ×3, first 2 shown]
	ds_write2_b32 v142, v44, v45 offset0:16 offset1:232
	v_lshrrev_b32_e32 v44, 16, v145
	v_mul_f16_sdwa v46, v145, v35 dst_sel:DWORD dst_unused:UNUSED_PAD src0_sel:DWORD src1_sel:WORD_1
	v_pack_b32_f16 v60, v61, v60
	v_pack_b32_f16 v56, v56, v57
	v_mul_f16_sdwa v45, v44, v35 dst_sel:DWORD dst_unused:UNUSED_PAD src0_sel:DWORD src1_sel:WORD_1
	v_fma_f16 v44, v44, v35, v46
	v_lshrrev_b32_e32 v46, 16, v147
	v_mul_f16_sdwa v57, v147, v36 dst_sel:DWORD dst_unused:UNUSED_PAD src0_sel:DWORD src1_sel:WORD_1
	ds_write2_b32 v141, v60, v56 offset1:216
	v_mul_f16_sdwa v56, v46, v36 dst_sel:DWORD dst_unused:UNUSED_PAD src0_sel:DWORD src1_sel:WORD_1
	v_fma_f16 v46, v46, v36, v57
	v_lshrrev_b32_e32 v57, 16, v149
	v_mul_f16_sdwa v58, v57, v37 dst_sel:DWORD dst_unused:UNUSED_PAD src0_sel:DWORD src1_sel:WORD_1
	v_mul_f16_sdwa v59, v149, v37 dst_sel:DWORD dst_unused:UNUSED_PAD src0_sel:DWORD src1_sel:WORD_1
	v_fma_f16 v45, v145, v35, -v45
	v_fma_f16 v56, v147, v36, -v56
	;; [unrolled: 1-line block ×3, first 2 shown]
	v_fma_f16 v57, v57, v37, v59
	v_lshrrev_b32_e32 v59, 16, v143
	v_sub_f16_e32 v56, v143, v56
	v_sub_f16_e32 v46, v59, v46
	;; [unrolled: 1-line block ×4, first 2 shown]
	v_fma_f16 v60, v143, 2.0, -v56
	v_fma_f16 v59, v59, 2.0, -v46
	v_fma_f16 v45, v45, 2.0, -v58
	v_fma_f16 v44, v44, 2.0, -v57
	v_sub_f16_e32 v57, v56, v57
	v_add_f16_e32 v58, v46, v58
	v_sub_f16_e32 v45, v60, v45
	v_sub_f16_e32 v44, v59, v44
	v_fma_f16 v56, v56, 2.0, -v57
	v_fma_f16 v46, v46, 2.0, -v58
	;; [unrolled: 1-line block ×4, first 2 shown]
	v_pack_b32_f16 v46, v56, v46
	v_lshlrev_b32_e32 v56, 2, v151
	v_pack_b32_f16 v59, v60, v59
	v_add_u32_e32 v143, 0x2800, v56
	v_pack_b32_f16 v44, v45, v44
	v_pack_b32_f16 v45, v57, v58
	v_add_u32_e32 v144, 0x2f00, v56
	v_mad_u64_u32 v[56:57], s[2:3], v43, 12, s[2:3]
	ds_write2_b32 v143, v59, v46 offset0:32 offset1:248
	ds_write2_b32 v144, v44, v45 offset0:16 offset1:232
	s_waitcnt lgkmcnt(0)
	s_barrier
	global_load_dwordx3 v[44:46], v[41:42], off offset:3432
	ds_read2_b32 v[61:62], v87 offset0:96 offset1:240
	global_load_dwordx3 v[41:43], v[56:57], off offset:3432
	v_add_co_u32_e32 v59, vcc, s14, v56
	v_addc_co_u32_e32 v60, vcc, 0, v57, vcc
	v_add_co_u32_e32 v65, vcc, s15, v56
	v_addc_co_u32_e32 v66, vcc, 0, v57, vcc
	s_waitcnt lgkmcnt(0)
	v_lshrrev_b32_e32 v56, 16, v61
	ds_read2_b32 v[63:64], v105 offset0:64 offset1:208
	s_mov_b32 s2, 0xb8003800
	s_mov_b32 s3, 0xffff
	s_waitcnt vmcnt(1)
	v_mul_f16_sdwa v57, v61, v44 dst_sel:DWORD dst_unused:UNUSED_PAD src0_sel:DWORD src1_sel:WORD_1
	v_fma_f16 v67, v56, v44, v57
	v_mul_f16_sdwa v56, v56, v44 dst_sel:DWORD dst_unused:UNUSED_PAD src0_sel:DWORD src1_sel:WORD_1
	v_fma_f16 v145, v61, v44, -v56
	v_lshrrev_b32_e32 v56, 16, v62
	s_waitcnt vmcnt(0)
	v_mul_f16_sdwa v57, v56, v41 dst_sel:DWORD dst_unused:UNUSED_PAD src0_sel:DWORD src1_sel:WORD_1
	v_fma_f16 v162, v62, v41, -v57
	v_mul_f16_sdwa v57, v62, v41 dst_sel:DWORD dst_unused:UNUSED_PAD src0_sel:DWORD src1_sel:WORD_1
	v_fma_f16 v163, v56, v41, v57
	global_load_dwordx3 v[56:58], v[59:60], off offset:1064
	s_waitcnt lgkmcnt(0)
	v_lshrrev_b32_e32 v61, 16, v63
	v_mul_f16_sdwa v62, v63, v45 dst_sel:DWORD dst_unused:UNUSED_PAD src0_sel:DWORD src1_sel:WORD_1
	v_fma_f16 v146, v61, v45, v62
	v_mul_f16_sdwa v61, v61, v45 dst_sel:DWORD dst_unused:UNUSED_PAD src0_sel:DWORD src1_sel:WORD_1
	v_fma_f16 v147, v63, v45, -v61
	ds_read2_b32 v[61:62], v83 offset0:32 offset1:176
	v_lshrrev_b32_e32 v63, 16, v64
	v_mul_f16_sdwa v148, v63, v42 dst_sel:DWORD dst_unused:UNUSED_PAD src0_sel:DWORD src1_sel:WORD_1
	v_fma_f16 v148, v64, v42, -v148
	v_mul_f16_sdwa v64, v64, v42 dst_sel:DWORD dst_unused:UNUSED_PAD src0_sel:DWORD src1_sel:WORD_1
	v_fma_f16 v164, v63, v42, v64
	s_waitcnt lgkmcnt(0)
	v_lshrrev_b32_e32 v63, 16, v61
	v_mul_f16_sdwa v64, v61, v46 dst_sel:DWORD dst_unused:UNUSED_PAD src0_sel:DWORD src1_sel:WORD_1
	v_fma_f16 v149, v63, v46, v64
	v_mul_f16_sdwa v63, v63, v46 dst_sel:DWORD dst_unused:UNUSED_PAD src0_sel:DWORD src1_sel:WORD_1
	v_fma_f16 v150, v61, v46, -v63
	v_lshrrev_b32_e32 v61, 16, v62
	v_mul_f16_sdwa v151, v61, v43 dst_sel:DWORD dst_unused:UNUSED_PAD src0_sel:DWORD src1_sel:WORD_1
	v_fma_f16 v165, v62, v43, -v151
	v_mul_f16_sdwa v62, v62, v43 dst_sel:DWORD dst_unused:UNUSED_PAD src0_sel:DWORD src1_sel:WORD_1
	ds_read2_b32 v[63:64], v100 offset1:144
	v_fma_f16 v62, v61, v43, v62
	global_load_dwordx3 v[59:61], v[59:60], off offset:2792
	v_sub_f16_e32 v150, v145, v150
	v_sub_f16_e32 v149, v67, v149
	s_waitcnt lgkmcnt(0)
	v_sub_f16_e32 v166, v64, v148
	v_lshrrev_b32_e32 v148, 16, v63
	v_sub_f16_e32 v147, v63, v147
	v_sub_f16_e32 v146, v148, v146
	v_fma_f16 v63, v63, 2.0, -v147
	v_fma_f16 v148, v148, 2.0, -v146
	;; [unrolled: 1-line block ×4, first 2 shown]
	v_sub_f16_e32 v145, v63, v145
	v_sub_f16_e32 v67, v148, v67
	;; [unrolled: 1-line block ×3, first 2 shown]
	v_add_f16_e32 v169, v146, v150
	v_fma_f16 v63, v63, 2.0, -v145
	v_fma_f16 v148, v148, 2.0, -v67
	;; [unrolled: 1-line block ×4, first 2 shown]
	v_pack_b32_f16 v67, v145, v67
	v_lshrrev_b32_e32 v167, 16, v64
	v_pack_b32_f16 v63, v63, v148
	v_pack_b32_f16 v170, v147, v146
	ds_read2_b32 v[146:147], v88 offset0:32 offset1:176
	ds_read2_b32 v[148:149], v106 offset1:144
	ds_read2_b32 v[150:151], v82 offset0:96 offset1:240
	ds_read2_b32 v[152:153], v102 offset0:64 offset1:208
	;; [unrolled: 1-line block ×4, first 2 shown]
	ds_read2_b32 v[158:159], v104 offset1:144
	ds_read2_b32 v[160:161], v81 offset0:96 offset1:240
	ds_write_b32 v100, v67 offset:6912
	v_pack_b32_f16 v67, v168, v169
	ds_write_b32 v100, v67 offset:10368
	v_sub_f16_e32 v67, v167, v164
	v_sub_f16_e32 v164, v162, v165
	;; [unrolled: 1-line block ×3, first 2 shown]
	v_fma_f16 v64, v64, 2.0, -v166
	v_fma_f16 v145, v167, 2.0, -v67
	;; [unrolled: 1-line block ×4, first 2 shown]
	v_sub_f16_e32 v162, v64, v162
	v_sub_f16_e32 v163, v145, v163
	v_fma_f16 v64, v64, 2.0, -v162
	v_fma_f16 v145, v145, 2.0, -v163
	v_pack_b32_f16 v64, v64, v145
	ds_write_b32 v100, v170 offset:3456
	ds_write2_b32 v100, v63, v64 offset1:144
	v_sub_f16_e32 v62, v166, v62
	v_add_f16_e32 v63, v67, v164
	v_fma_f16 v64, v166, 2.0, -v62
	v_fma_f16 v67, v67, 2.0, -v63
	v_pack_b32_f16 v164, v64, v67
	s_waitcnt lgkmcnt(10)
	v_lshrrev_b32_e32 v67, 16, v148
	v_pack_b32_f16 v64, v162, v163
	v_pack_b32_f16 v62, v62, v63
	ds_write_b32 v100, v64 offset:7488
	ds_write_b32 v100, v62 offset:10944
	global_load_dwordx3 v[62:64], v[65:66], off offset:424
	v_lshrrev_b32_e32 v165, 16, v146
	s_waitcnt vmcnt(2)
	v_mul_f16_sdwa v145, v148, v56 dst_sel:DWORD dst_unused:UNUSED_PAD src0_sel:DWORD src1_sel:WORD_1
	v_fma_f16 v162, v67, v56, v145
	v_mul_f16_sdwa v67, v67, v56 dst_sel:DWORD dst_unused:UNUSED_PAD src0_sel:DWORD src1_sel:WORD_1
	v_fma_f16 v148, v148, v56, -v67
	s_waitcnt lgkmcnt(11)
	v_lshrrev_b32_e32 v67, 16, v150
	v_mul_f16_sdwa v145, v150, v57 dst_sel:DWORD dst_unused:UNUSED_PAD src0_sel:DWORD src1_sel:WORD_1
	v_fma_f16 v145, v67, v57, v145
	v_mul_f16_sdwa v67, v67, v57 dst_sel:DWORD dst_unused:UNUSED_PAD src0_sel:DWORD src1_sel:WORD_1
	v_fma_f16 v67, v150, v57, -v67
	s_waitcnt lgkmcnt(10)
	v_lshrrev_b32_e32 v150, 16, v152
	v_mul_f16_sdwa v163, v152, v58 dst_sel:DWORD dst_unused:UNUSED_PAD src0_sel:DWORD src1_sel:WORD_1
	v_fma_f16 v163, v150, v58, v163
	v_mul_f16_sdwa v150, v150, v58 dst_sel:DWORD dst_unused:UNUSED_PAD src0_sel:DWORD src1_sel:WORD_1
	v_fma_f16 v150, v152, v58, -v150
	v_sub_f16_e32 v152, v146, v67
	v_sub_f16_e32 v166, v165, v145
	;; [unrolled: 1-line block ×5, first 2 shown]
	v_add_f16_e32 v168, v166, v150
	v_fma_f16 v67, v152, 2.0, -v167
	v_fma_f16 v145, v166, 2.0, -v168
	v_pack_b32_f16 v169, v67, v145
	global_load_dwordx3 v[65:67], v[65:66], off offset:2152
	v_add_u32_e32 v145, 0xf00, v100
	ds_write2_b32 v145, v164, v169 offset0:48 offset1:192
	v_lshrrev_b32_e32 v164, 16, v149
	s_waitcnt vmcnt(2)
	v_mul_f16_sdwa v169, v164, v59 dst_sel:DWORD dst_unused:UNUSED_PAD src0_sel:DWORD src1_sel:WORD_1
	v_fma_f16 v169, v149, v59, -v169
	v_mul_f16_sdwa v149, v149, v59 dst_sel:DWORD dst_unused:UNUSED_PAD src0_sel:DWORD src1_sel:WORD_1
	v_fma_f16 v149, v164, v59, v149
	v_lshrrev_b32_e32 v164, 16, v151
	v_mul_f16_sdwa v170, v164, v60 dst_sel:DWORD dst_unused:UNUSED_PAD src0_sel:DWORD src1_sel:WORD_1
	v_fma_f16 v170, v151, v60, -v170
	v_mul_f16_sdwa v151, v151, v60 dst_sel:DWORD dst_unused:UNUSED_PAD src0_sel:DWORD src1_sel:WORD_1
	v_fma_f16 v151, v164, v60, v151
	v_lshrrev_b32_e32 v164, 16, v153
	v_mul_f16_sdwa v171, v164, v61 dst_sel:DWORD dst_unused:UNUSED_PAD src0_sel:DWORD src1_sel:WORD_1
	v_fma_f16 v171, v153, v61, -v171
	v_mul_f16_sdwa v153, v153, v61 dst_sel:DWORD dst_unused:UNUSED_PAD src0_sel:DWORD src1_sel:WORD_1
	v_fma_f16 v153, v164, v61, v153
	v_fma_f16 v164, v165, 2.0, -v166
	v_fma_f16 v148, v148, 2.0, -v150
	;; [unrolled: 1-line block ×4, first 2 shown]
	v_sub_f16_e32 v148, v146, v148
	v_sub_f16_e32 v150, v164, v150
	v_lshrrev_b32_e32 v162, 16, v147
	v_fma_f16 v146, v146, 2.0, -v148
	v_fma_f16 v163, v164, 2.0, -v150
	v_sub_f16_e32 v152, v147, v170
	v_pack_b32_f16 v146, v146, v163
	v_sub_f16_e32 v151, v162, v151
	v_sub_f16_e32 v163, v169, v171
	v_sub_f16_e32 v153, v149, v153
	v_fma_f16 v147, v147, 2.0, -v152
	v_fma_f16 v162, v162, 2.0, -v151
	;; [unrolled: 1-line block ×4, first 2 shown]
	v_sub_f16_e32 v164, v147, v164
	v_sub_f16_e32 v149, v162, v149
	v_fma_f16 v147, v147, 2.0, -v164
	v_fma_f16 v162, v162, 2.0, -v149
	v_pack_b32_f16 v147, v147, v162
	ds_write2_b32 v88, v146, v147 offset0:32 offset1:176
	v_pack_b32_f16 v146, v148, v150
	v_pack_b32_f16 v147, v164, v149
	ds_write2_b32 v82, v146, v147 offset0:96 offset1:240
	v_sub_f16_e32 v147, v152, v153
	v_add_f16_e32 v148, v151, v163
	v_pack_b32_f16 v146, v167, v168
	v_pack_b32_f16 v149, v147, v148
	ds_write2_b32 v102, v146, v149 offset0:64 offset1:208
	v_fma_f16 v146, v152, 2.0, -v147
	v_fma_f16 v147, v151, 2.0, -v148
	v_pack_b32_f16 v146, v146, v147
	s_waitcnt lgkmcnt(12)
	v_lshrrev_b32_e32 v147, 16, v156
	s_waitcnt vmcnt(1)
	v_mul_f16_sdwa v148, v156, v62 dst_sel:DWORD dst_unused:UNUSED_PAD src0_sel:DWORD src1_sel:WORD_1
	s_waitcnt lgkmcnt(11)
	v_lshrrev_b32_e32 v149, 16, v158
	v_mul_f16_sdwa v150, v158, v63 dst_sel:DWORD dst_unused:UNUSED_PAD src0_sel:DWORD src1_sel:WORD_1
	s_waitcnt lgkmcnt(10)
	v_lshrrev_b32_e32 v151, 16, v160
	v_mul_f16_sdwa v152, v160, v64 dst_sel:DWORD dst_unused:UNUSED_PAD src0_sel:DWORD src1_sel:WORD_1
	v_fma_f16 v148, v147, v62, v148
	v_mul_f16_sdwa v147, v147, v62 dst_sel:DWORD dst_unused:UNUSED_PAD src0_sel:DWORD src1_sel:WORD_1
	v_fma_f16 v150, v149, v63, v150
	;; [unrolled: 2-line block ×3, first 2 shown]
	v_mul_f16_sdwa v151, v151, v64 dst_sel:DWORD dst_unused:UNUSED_PAD src0_sel:DWORD src1_sel:WORD_1
	v_fma_f16 v147, v156, v62, -v147
	v_fma_f16 v149, v158, v63, -v149
	;; [unrolled: 1-line block ×3, first 2 shown]
	v_lshrrev_b32_e32 v153, 16, v154
	v_sub_f16_e32 v149, v154, v149
	v_sub_f16_e32 v150, v153, v150
	;; [unrolled: 1-line block ×5, first 2 shown]
	v_add_f16_e32 v158, v150, v151
	v_fma_f16 v160, v149, 2.0, -v156
	v_fma_f16 v162, v150, 2.0, -v158
	v_pack_b32_f16 v160, v160, v162
	ds_write2_b32 v108, v146, v160 offset0:16 offset1:160
	v_lshrrev_b32_e32 v146, 16, v157
	s_waitcnt vmcnt(0)
	v_mul_f16_sdwa v160, v146, v65 dst_sel:DWORD dst_unused:UNUSED_PAD src0_sel:DWORD src1_sel:WORD_1
	v_fma_f16 v160, v157, v65, -v160
	v_mul_f16_sdwa v157, v157, v65 dst_sel:DWORD dst_unused:UNUSED_PAD src0_sel:DWORD src1_sel:WORD_1
	v_fma_f16 v146, v146, v65, v157
	v_lshrrev_b32_e32 v157, 16, v159
	v_mul_f16_sdwa v162, v157, v66 dst_sel:DWORD dst_unused:UNUSED_PAD src0_sel:DWORD src1_sel:WORD_1
	v_fma_f16 v162, v159, v66, -v162
	v_mul_f16_sdwa v159, v159, v66 dst_sel:DWORD dst_unused:UNUSED_PAD src0_sel:DWORD src1_sel:WORD_1
	v_fma_f16 v157, v157, v66, v159
	v_lshrrev_b32_e32 v159, 16, v161
	v_mul_f16_sdwa v163, v159, v67 dst_sel:DWORD dst_unused:UNUSED_PAD src0_sel:DWORD src1_sel:WORD_1
	v_fma_f16 v150, v153, 2.0, -v150
	v_fma_f16 v147, v147, 2.0, -v151
	;; [unrolled: 1-line block ×4, first 2 shown]
	v_fma_f16 v163, v161, v67, -v163
	v_mul_f16_sdwa v161, v161, v67 dst_sel:DWORD dst_unused:UNUSED_PAD src0_sel:DWORD src1_sel:WORD_1
	v_sub_f16_e32 v147, v149, v147
	v_sub_f16_e32 v148, v150, v148
	v_fma_f16 v159, v159, v67, v161
	v_sub_f16_e32 v151, v155, v162
	v_lshrrev_b32_e32 v152, 16, v155
	v_fma_f16 v149, v149, 2.0, -v147
	v_fma_f16 v150, v150, 2.0, -v148
	;; [unrolled: 1-line block ×3, first 2 shown]
	v_pack_b32_f16 v149, v149, v150
	v_sub_f16_e32 v150, v152, v157
	v_sub_f16_e32 v154, v160, v163
	;; [unrolled: 1-line block ×3, first 2 shown]
	v_fma_f16 v152, v152, 2.0, -v150
	v_fma_f16 v157, v160, 2.0, -v154
	;; [unrolled: 1-line block ×3, first 2 shown]
	v_sub_f16_e32 v157, v153, v157
	v_sub_f16_e32 v146, v152, v146
	v_fma_f16 v153, v153, 2.0, -v157
	v_fma_f16 v152, v152, 2.0, -v146
	v_pack_b32_f16 v147, v147, v148
	v_pack_b32_f16 v146, v157, v146
	;; [unrolled: 1-line block ×3, first 2 shown]
	ds_write2_b32 v104, v147, v146 offset1:144
	v_sub_f16_e32 v147, v151, v155
	v_add_f16_e32 v148, v150, v154
	ds_write2_b32 v107, v149, v152 offset0:64 offset1:208
	v_pack_b32_f16 v146, v156, v158
	v_pack_b32_f16 v149, v147, v148
	ds_write2_b32 v81, v146, v149 offset0:96 offset1:240
	v_fma_f16 v146, v151, 2.0, -v147
	v_fma_f16 v147, v150, 2.0, -v148
	v_pack_b32_f16 v146, v146, v147
	ds_write_b32 v100, v146 offset:6336
	s_waitcnt lgkmcnt(0)
	s_barrier
	global_load_dword v154, v100, s[6:7]
	global_load_dword v155, v100, s[6:7] offset:576
	global_load_dword v156, v100, s[6:7] offset:1152
	global_load_dword v157, v100, s[6:7] offset:2880
	global_load_dword v158, v100, s[6:7] offset:3456
	v_mov_b32_e32 v146, s7
	v_add_co_u32_e32 v152, vcc, s6, v100
	v_addc_co_u32_e32 v153, vcc, 0, v146, vcc
	v_add_co_u32_e32 v146, vcc, s14, v152
	v_addc_co_u32_e32 v147, vcc, 0, v153, vcc
	global_load_dword v159, v[146:147], off offset:3392
	global_load_dword v160, v[146:147], off offset:3968
	v_add_co_u32_e32 v148, vcc, s15, v152
	v_addc_co_u32_e32 v149, vcc, 0, v153, vcc
	global_load_dword v161, v[148:149], off offset:1600
	global_load_dword v162, v[148:149], off offset:2176
	ds_read2_b32 v[150:151], v100 offset1:144
	v_add_co_u32_e32 v152, vcc, s12, v152
	v_addc_co_u32_e32 v153, vcc, 0, v153, vcc
	s_waitcnt lgkmcnt(0)
	v_lshrrev_b32_e32 v163, 16, v150
	global_load_dword v164, v100, s[6:7] offset:4032
	global_load_dword v165, v[152:153], off offset:960
	global_load_dword v166, v[152:153], off offset:384
	global_load_dword v167, v[148:149], off offset:3904
	global_load_dword v168, v100, s[6:7] offset:1728
	global_load_dword v169, v100, s[6:7] offset:2304
	global_load_dword v170, v[146:147], off offset:2240
	s_waitcnt vmcnt(15)
	v_mul_f16_sdwa v152, v150, v154 dst_sel:DWORD dst_unused:UNUSED_PAD src0_sel:DWORD src1_sel:WORD_1
	v_mul_f16_sdwa v153, v163, v154 dst_sel:DWORD dst_unused:UNUSED_PAD src0_sel:DWORD src1_sel:WORD_1
	v_fma_f16 v152, v163, v154, v152
	v_fma_f16 v150, v150, v154, -v153
	v_pack_b32_f16 v150, v150, v152
	ds_write_b32 v100, v150
	ds_read2_b32 v[152:153], v88 offset0:32 offset1:176
	v_lshrrev_b32_e32 v154, 16, v151
	s_waitcnt vmcnt(14)
	v_mul_f16_sdwa v163, v154, v155 dst_sel:DWORD dst_unused:UNUSED_PAD src0_sel:DWORD src1_sel:WORD_1
	v_fma_f16 v150, v151, v155, -v163
	v_mul_f16_sdwa v151, v151, v155 dst_sel:DWORD dst_unused:UNUSED_PAD src0_sel:DWORD src1_sel:WORD_1
	v_fma_f16 v151, v154, v155, v151
	v_pack_b32_f16 v154, v150, v151
	s_waitcnt lgkmcnt(0)
	v_lshrrev_b32_e32 v150, 16, v152
	s_waitcnt vmcnt(13)
	v_mul_f16_sdwa v151, v152, v156 dst_sel:DWORD dst_unused:UNUSED_PAD src0_sel:DWORD src1_sel:WORD_1
	v_fma_f16 v155, v150, v156, v151
	v_mul_f16_sdwa v163, v150, v156 dst_sel:DWORD dst_unused:UNUSED_PAD src0_sel:DWORD src1_sel:WORD_1
	ds_read2_b32 v[150:151], v107 offset0:64 offset1:208
	v_fma_f16 v152, v152, v156, -v163
	v_pack_b32_f16 v152, v152, v155
	v_add_u32_e32 v155, 0x200, v100
	ds_write2_b32 v155, v154, v152 offset0:16 offset1:160
	ds_read2_b32 v[154:155], v87 offset0:96 offset1:240
	global_load_dword v163, v[146:147], off offset:2816
	s_waitcnt lgkmcnt(2)
	v_lshrrev_b32_e32 v152, 16, v151
	s_waitcnt vmcnt(13)
	v_mul_f16_sdwa v156, v151, v157 dst_sel:DWORD dst_unused:UNUSED_PAD src0_sel:DWORD src1_sel:WORD_1
	v_fma_f16 v156, v152, v157, v156
	v_mul_f16_sdwa v152, v152, v157 dst_sel:DWORD dst_unused:UNUSED_PAD src0_sel:DWORD src1_sel:WORD_1
	v_fma_f16 v151, v151, v157, -v152
	v_pack_b32_f16 v156, v151, v156
	s_waitcnt lgkmcnt(0)
	v_lshrrev_b32_e32 v157, 16, v154
	s_waitcnt vmcnt(12)
	v_mul_f16_sdwa v151, v154, v158 dst_sel:DWORD dst_unused:UNUSED_PAD src0_sel:DWORD src1_sel:WORD_1
	v_fma_f16 v171, v157, v158, v151
	v_mul_f16_sdwa v157, v157, v158 dst_sel:DWORD dst_unused:UNUSED_PAD src0_sel:DWORD src1_sel:WORD_1
	v_fma_f16 v154, v154, v158, -v157
	v_pack_b32_f16 v154, v154, v171
	global_load_dword v109, v109, s[6:7]
	ds_read2_b32 v[151:152], v105 offset0:64 offset1:208
	ds_write2_b32 v115, v156, v154 offset0:80 offset1:224
	ds_read2_b32 v[156:157], v82 offset0:96 offset1:240
	global_load_dword v171, v[148:149], off offset:2752
	global_load_dword v172, v[148:149], off offset:3328
	;; [unrolled: 1-line block ×3, first 2 shown]
	s_movk_i32 s6, 0x1ff
	s_waitcnt lgkmcnt(2)
	v_lshrrev_b32_e32 v115, 16, v152
	s_waitcnt vmcnt(15)
	v_mul_f16_sdwa v154, v152, v159 dst_sel:DWORD dst_unused:UNUSED_PAD src0_sel:DWORD src1_sel:WORD_1
	v_fma_f16 v148, v115, v159, v154
	v_mul_f16_sdwa v115, v115, v159 dst_sel:DWORD dst_unused:UNUSED_PAD src0_sel:DWORD src1_sel:WORD_1
	v_fma_f16 v115, v152, v159, -v115
	v_pack_b32_f16 v115, v115, v148
	s_waitcnt lgkmcnt(0)
	v_lshrrev_b32_e32 v152, 16, v156
	s_waitcnt vmcnt(14)
	v_mul_f16_sdwa v148, v156, v160 dst_sel:DWORD dst_unused:UNUSED_PAD src0_sel:DWORD src1_sel:WORD_1
	v_fma_f16 v154, v152, v160, v148
	v_mul_f16_sdwa v152, v152, v160 dst_sel:DWORD dst_unused:UNUSED_PAD src0_sel:DWORD src1_sel:WORD_1
	v_fma_f16 v152, v156, v160, -v152
	v_pack_b32_f16 v152, v152, v154
	ds_write2_b32 v113, v115, v152 offset0:80 offset1:224
	ds_read2_b32 v[148:149], v104 offset1:144
	ds_read2_b32 v[158:159], v83 offset0:32 offset1:176
	global_load_dword v152, v[146:147], off offset:1664
	global_load_dword v154, v[146:147], off offset:1088
	;; [unrolled: 1-line block ×3, first 2 shown]
	ds_read2_b32 v[146:147], v102 offset0:64 offset1:208
	s_movk_i32 s7, 0xffe
	s_waitcnt lgkmcnt(2)
	v_lshrrev_b32_e32 v113, 16, v149
	s_waitcnt vmcnt(16)
	v_mul_f16_sdwa v115, v149, v161 dst_sel:DWORD dst_unused:UNUSED_PAD src0_sel:DWORD src1_sel:WORD_1
	v_fma_f16 v115, v113, v161, v115
	v_mul_f16_sdwa v113, v113, v161 dst_sel:DWORD dst_unused:UNUSED_PAD src0_sel:DWORD src1_sel:WORD_1
	v_fma_f16 v113, v149, v161, -v113
	v_pack_b32_f16 v113, v113, v115
	s_waitcnt lgkmcnt(1)
	v_lshrrev_b32_e32 v115, 16, v158
	s_waitcnt vmcnt(15)
	v_mul_f16_sdwa v149, v158, v162 dst_sel:DWORD dst_unused:UNUSED_PAD src0_sel:DWORD src1_sel:WORD_1
	v_fma_f16 v149, v115, v162, v149
	v_mul_f16_sdwa v115, v115, v162 dst_sel:DWORD dst_unused:UNUSED_PAD src0_sel:DWORD src1_sel:WORD_1
	v_fma_f16 v115, v158, v162, -v115
	v_pack_b32_f16 v115, v115, v149
	ds_write2_b32 v112, v113, v115 offset0:16 offset1:160
	ds_read2_b32 v[112:113], v81 offset0:96 offset1:240
	s_waitcnt lgkmcnt(2)
	v_lshrrev_b32_e32 v115, 16, v147
	s_waitcnt vmcnt(11)
	v_mul_f16_sdwa v149, v147, v167 dst_sel:DWORD dst_unused:UNUSED_PAD src0_sel:DWORD src1_sel:WORD_1
	v_fma_f16 v149, v115, v167, v149
	v_mul_f16_sdwa v115, v115, v167 dst_sel:DWORD dst_unused:UNUSED_PAD src0_sel:DWORD src1_sel:WORD_1
	v_fma_f16 v115, v147, v167, -v115
	v_pack_b32_f16 v115, v115, v149
	s_waitcnt lgkmcnt(0)
	v_lshrrev_b32_e32 v147, 16, v112
	v_mul_f16_sdwa v149, v112, v166 dst_sel:DWORD dst_unused:UNUSED_PAD src0_sel:DWORD src1_sel:WORD_1
	v_fma_f16 v149, v147, v166, v149
	v_mul_f16_sdwa v147, v147, v166 dst_sel:DWORD dst_unused:UNUSED_PAD src0_sel:DWORD src1_sel:WORD_1
	v_fma_f16 v112, v112, v166, -v147
	v_pack_b32_f16 v112, v112, v149
	ds_write2_b32 v111, v115, v112 offset0:80 offset1:224
	v_lshrrev_b32_e32 v111, 16, v150
	s_waitcnt vmcnt(9)
	v_mul_f16_sdwa v115, v150, v169 dst_sel:DWORD dst_unused:UNUSED_PAD src0_sel:DWORD src1_sel:WORD_1
	v_mul_f16_sdwa v112, v111, v169 dst_sel:DWORD dst_unused:UNUSED_PAD src0_sel:DWORD src1_sel:WORD_1
	v_fma_f16 v111, v111, v169, v115
	v_lshrrev_b32_e32 v115, 16, v153
	v_mul_f16_sdwa v147, v115, v168 dst_sel:DWORD dst_unused:UNUSED_PAD src0_sel:DWORD src1_sel:WORD_1
	v_mul_f16_sdwa v149, v153, v168 dst_sel:DWORD dst_unused:UNUSED_PAD src0_sel:DWORD src1_sel:WORD_1
	v_fma_f16 v112, v150, v169, -v112
	v_fma_f16 v147, v153, v168, -v147
	v_fma_f16 v115, v115, v168, v149
	v_pack_b32_f16 v111, v112, v111
	v_pack_b32_f16 v112, v147, v115
	v_add_u32_e32 v115, 0x600, v100
	ds_write2_b32 v115, v112, v111 offset0:48 offset1:192
	ds_read2_b32 v[111:112], v85 offset0:32 offset1:176
	v_lshrrev_b32_e32 v115, 16, v151
	s_waitcnt vmcnt(7)
	v_mul_f16_sdwa v147, v115, v163 dst_sel:DWORD dst_unused:UNUSED_PAD src0_sel:DWORD src1_sel:WORD_1
	v_mul_f16_sdwa v149, v151, v163 dst_sel:DWORD dst_unused:UNUSED_PAD src0_sel:DWORD src1_sel:WORD_1
	v_fma_f16 v147, v151, v163, -v147
	v_fma_f16 v115, v115, v163, v149
	v_pack_b32_f16 v115, v147, v115
	s_waitcnt lgkmcnt(0)
	v_lshrrev_b32_e32 v147, 16, v112
	v_mul_f16_sdwa v149, v112, v170 dst_sel:DWORD dst_unused:UNUSED_PAD src0_sel:DWORD src1_sel:WORD_1
	v_fma_f16 v149, v147, v170, v149
	v_mul_f16_sdwa v147, v147, v170 dst_sel:DWORD dst_unused:UNUSED_PAD src0_sel:DWORD src1_sel:WORD_1
	v_fma_f16 v112, v112, v170, -v147
	v_pack_b32_f16 v112, v112, v149
	v_add_u32_e32 v147, 0x1800, v100
	ds_write2_b32 v147, v112, v115 offset0:48 offset1:192
	v_lshrrev_b32_e32 v112, 16, v148
	s_waitcnt vmcnt(6)
	v_mul_f16_sdwa v115, v112, v109 dst_sel:DWORD dst_unused:UNUSED_PAD src0_sel:DWORD src1_sel:WORD_1
	v_mul_f16_sdwa v147, v148, v109 dst_sel:DWORD dst_unused:UNUSED_PAD src0_sel:DWORD src1_sel:WORD_1
	v_fma_f16 v115, v148, v109, -v115
	v_fma_f16 v109, v112, v109, v147
	v_lshrrev_b32_e32 v112, 16, v157
	s_waitcnt vmcnt(3)
	v_mul_f16_sdwa v147, v112, v173 dst_sel:DWORD dst_unused:UNUSED_PAD src0_sel:DWORD src1_sel:WORD_1
	v_mul_f16_sdwa v148, v157, v173 dst_sel:DWORD dst_unused:UNUSED_PAD src0_sel:DWORD src1_sel:WORD_1
	v_fma_f16 v147, v157, v173, -v147
	v_fma_f16 v112, v112, v173, v148
	v_pack_b32_f16 v109, v115, v109
	v_pack_b32_f16 v112, v147, v112
	v_add_u32_e32 v115, 0x2100, v100
	ds_write2_b32 v115, v112, v109 offset0:48 offset1:192
	v_lshrrev_b32_e32 v109, 16, v146
	v_mul_f16_sdwa v115, v146, v172 dst_sel:DWORD dst_unused:UNUSED_PAD src0_sel:DWORD src1_sel:WORD_1
	v_mul_f16_sdwa v112, v109, v172 dst_sel:DWORD dst_unused:UNUSED_PAD src0_sel:DWORD src1_sel:WORD_1
	v_fma_f16 v109, v109, v172, v115
	v_lshrrev_b32_e32 v115, 16, v159
	v_fma_f16 v112, v146, v172, -v112
	v_mul_f16_sdwa v146, v115, v171 dst_sel:DWORD dst_unused:UNUSED_PAD src0_sel:DWORD src1_sel:WORD_1
	v_fma_f16 v148, v159, v171, -v146
	v_mul_f16_sdwa v146, v159, v171 dst_sel:DWORD dst_unused:UNUSED_PAD src0_sel:DWORD src1_sel:WORD_1
	v_fma_f16 v115, v115, v171, v146
	ds_read2_b32 v[146:147], v106 offset1:144
	v_pack_b32_f16 v109, v112, v109
	v_pack_b32_f16 v112, v148, v115
	v_add_u32_e32 v115, 0x2a00, v100
	ds_write2_b32 v115, v112, v109 offset0:48 offset1:192
	s_waitcnt lgkmcnt(1)
	v_lshrrev_b32_e32 v109, 16, v146
	s_waitcnt vmcnt(0)
	v_mul_f16_sdwa v112, v146, v156 dst_sel:DWORD dst_unused:UNUSED_PAD src0_sel:DWORD src1_sel:WORD_1
	v_fma_f16 v112, v109, v156, v112
	v_mul_f16_sdwa v109, v109, v156 dst_sel:DWORD dst_unused:UNUSED_PAD src0_sel:DWORD src1_sel:WORD_1
	v_lshrrev_b32_e32 v115, 16, v147
	v_fma_f16 v109, v146, v156, -v109
	v_mul_f16_sdwa v146, v115, v154 dst_sel:DWORD dst_unused:UNUSED_PAD src0_sel:DWORD src1_sel:WORD_1
	v_fma_f16 v146, v147, v154, -v146
	v_mul_f16_sdwa v147, v147, v154 dst_sel:DWORD dst_unused:UNUSED_PAD src0_sel:DWORD src1_sel:WORD_1
	v_fma_f16 v115, v115, v154, v147
	v_lshrrev_b32_e32 v147, 16, v111
	v_mul_f16_sdwa v148, v147, v152 dst_sel:DWORD dst_unused:UNUSED_PAD src0_sel:DWORD src1_sel:WORD_1
	v_fma_f16 v148, v111, v152, -v148
	v_mul_f16_sdwa v111, v111, v152 dst_sel:DWORD dst_unused:UNUSED_PAD src0_sel:DWORD src1_sel:WORD_1
	v_fma_f16 v111, v147, v152, v111
	v_pack_b32_f16 v115, v146, v115
	v_pack_b32_f16 v111, v148, v111
	ds_write2_b32 v108, v115, v111 offset0:16 offset1:160
	v_lshrrev_b32_e32 v111, 16, v155
	v_mul_f16_sdwa v115, v111, v164 dst_sel:DWORD dst_unused:UNUSED_PAD src0_sel:DWORD src1_sel:WORD_1
	v_mul_f16_sdwa v146, v155, v164 dst_sel:DWORD dst_unused:UNUSED_PAD src0_sel:DWORD src1_sel:WORD_1
	v_fma_f16 v115, v155, v164, -v115
	v_fma_f16 v111, v111, v164, v146
	v_pack_b32_f16 v109, v109, v112
	v_pack_b32_f16 v111, v115, v111
	ds_write2_b32 v145, v111, v109 offset0:48 offset1:192
	v_lshrrev_b32_e32 v109, 16, v113
	v_mul_f16_sdwa v111, v109, v165 dst_sel:DWORD dst_unused:UNUSED_PAD src0_sel:DWORD src1_sel:WORD_1
	v_mul_f16_sdwa v112, v113, v165 dst_sel:DWORD dst_unused:UNUSED_PAD src0_sel:DWORD src1_sel:WORD_1
	v_fma_f16 v111, v113, v165, -v111
	v_fma_f16 v109, v109, v165, v112
	v_pack_b32_f16 v109, v111, v109
	ds_write_b32 v100, v109 offset:13248
	s_waitcnt lgkmcnt(0)
	s_barrier
	ds_read2_b32 v[111:112], v106 offset1:144
	ds_read2_b32 v[146:147], v104 offset1:144
	;; [unrolled: 1-line block ×3, first 2 shown]
	ds_read2_b32 v[150:151], v105 offset0:64 offset1:208
	ds_read2_b32 v[152:153], v102 offset0:64 offset1:208
	;; [unrolled: 1-line block ×9, first 2 shown]
	s_waitcnt lgkmcnt(0)
	v_pk_add_f16 v109, v111, v146
	v_pk_fma_f16 v109, v109, 0.5, v148 op_sel_hi:[1,0,1] neg_lo:[1,0,0] neg_hi:[1,0,0]
	v_pk_add_f16 v113, v111, v146 neg_lo:[0,1] neg_hi:[0,1]
	v_pk_fma_f16 v115, v113, s0, v109 op_sel:[0,0,1] op_sel_hi:[1,0,0] neg_lo:[1,0,0] neg_hi:[1,0,0]
	v_pk_fma_f16 v109, v113, s0, v109 op_sel:[0,0,1] op_sel_hi:[1,0,0]
	v_pk_add_f16 v113, v150, v152
	v_pk_fma_f16 v113, v113, 0.5, v154 op_sel_hi:[1,0,1] neg_lo:[1,0,0] neg_hi:[1,0,0]
	v_pk_add_f16 v156, v150, v152 neg_lo:[0,1] neg_hi:[0,1]
	v_pk_fma_f16 v157, v156, s0, v113 op_sel:[0,0,1] op_sel_hi:[1,0,0]
	v_pk_fma_f16 v113, v156, s0, v113 op_sel:[0,0,1] op_sel_hi:[1,0,0] neg_lo:[1,0,0] neg_hi:[1,0,0]
	v_lshrrev_b32_e32 v156, 16, v113
	v_mul_f16_e32 v158, 0xbaee, v157
	v_fma_f16 v172, v156, 0.5, v158
	v_pk_mul_f16 v156, v113, s0 op_sel_hi:[1,0]
	v_pk_add_f16 v111, v148, v111
	v_pk_fma_f16 v173, v157, s2, v156 op_sel:[0,0,1] op_sel_hi:[1,1,0]
	v_pk_fma_f16 v174, v157, s2, v156 op_sel:[0,0,1] op_sel_hi:[1,1,0] neg_lo:[0,0,1] neg_hi:[0,0,1]
	v_lshrrev_b32_e32 v156, 16, v157
	v_mul_f16_e32 v113, -0.5, v113
	v_pk_add_f16 v111, v111, v146
	v_pk_add_f16 v146, v154, v150
	v_fma_f16 v113, v156, s0, v113
	v_pk_add_f16 v146, v146, v152
	v_bfi_b32 v148, s3, v173, v174
	v_pk_add_f16 v148, v109, v148
	v_add_f16_e32 v150, v115, v113
	v_pk_add_f16 v157, v111, v146 neg_lo:[0,1] neg_hi:[0,1]
	v_pk_add_f16 v158, v111, v146
	v_add_f16_sdwa v111, v115, v172 dst_sel:DWORD dst_unused:UNUSED_PAD src0_sel:WORD_1 src1_sel:DWORD
	v_alignbit_b32 v156, v150, v148, 16
	v_pack_b32_f16 v159, v111, v148
	v_pack_b32_f16 v111, v172, v173
	v_alignbit_b32 v146, v109, v115, 16
	v_alignbit_b32 v109, v115, v109, 16
	;; [unrolled: 1-line block ×3, first 2 shown]
	s_barrier
	ds_write2_b64 v114, v[158:159], v[156:157] offset1:1
	v_pk_add_f16 v156, v146, v111 neg_lo:[0,1] neg_hi:[0,1]
	v_pk_add_f16 v157, v109, v113 neg_lo:[0,1] neg_hi:[0,1]
	ds_write_b64 v114, v[156:157] offset:16
	v_pk_add_f16 v111, v112, v147
	v_pk_add_f16 v114, v151, v153
	;; [unrolled: 1-line block ×3, first 2 shown]
	v_pk_add_f16 v112, v112, v147 neg_lo:[0,1] neg_hi:[0,1]
	v_pk_add_f16 v115, v151, v153 neg_lo:[0,1] neg_hi:[0,1]
	v_pk_fma_f16 v111, v111, 0.5, v149 op_sel_hi:[1,0,1] neg_lo:[1,0,0] neg_hi:[1,0,0]
	v_pk_fma_f16 v114, v114, 0.5, v155 op_sel_hi:[1,0,1] neg_lo:[1,0,0] neg_hi:[1,0,0]
	v_pk_add_f16 v109, v109, v147
	v_pk_fma_f16 v146, v112, s0, v111 op_sel:[0,0,1] op_sel_hi:[1,0,0] neg_lo:[1,0,0] neg_hi:[1,0,0]
	v_pk_fma_f16 v147, v112, s0, v111 op_sel:[0,0,1] op_sel_hi:[1,0,0]
	v_pk_fma_f16 v111, v115, s0, v114 op_sel:[0,0,1] op_sel_hi:[1,0,0]
	v_pk_fma_f16 v112, v115, s0, v114 op_sel:[0,0,1] op_sel_hi:[1,0,0] neg_lo:[1,0,0] neg_hi:[1,0,0]
	v_lshrrev_b32_e32 v114, 16, v112
	v_mul_f16_e32 v115, 0xbaee, v111
	v_fma_f16 v115, v114, 0.5, v115
	v_pk_mul_f16 v114, v112, s0 op_sel_hi:[1,0]
	v_pk_add_f16 v113, v155, v151
	v_pk_fma_f16 v148, v111, s2, v114 op_sel:[0,0,1] op_sel_hi:[1,1,0]
	v_pk_fma_f16 v149, v111, s2, v114 op_sel:[0,0,1] op_sel_hi:[1,1,0] neg_lo:[0,0,1] neg_hi:[0,0,1]
	v_lshrrev_b32_e32 v111, 16, v111
	v_mul_f16_e32 v112, -0.5, v112
	v_pk_add_f16 v113, v113, v153
	v_fma_f16 v150, v111, s0, v112
	v_bfi_b32 v111, s3, v148, v149
	v_pk_add_f16 v114, v147, v111
	v_add_f16_e32 v111, v146, v150
	v_pk_add_f16 v112, v109, v113 neg_lo:[0,1] neg_hi:[0,1]
	v_pk_add_f16 v113, v109, v113
	v_add_f16_sdwa v109, v146, v115 dst_sel:DWORD dst_unused:UNUSED_PAD src0_sel:WORD_1 src1_sel:DWORD
	v_alignbit_b32 v111, v111, v114, 16
	v_pack_b32_f16 v114, v109, v114
	ds_write2_b64 v116, v[113:114], v[111:112] offset1:1
	v_pack_b32_f16 v109, v115, v148
	v_alignbit_b32 v111, v147, v146, 16
	v_alignbit_b32 v112, v146, v147, 16
	v_alignbit_b32 v113, v150, v149, 16
	v_pk_add_f16 v111, v111, v109 neg_lo:[0,1] neg_hi:[0,1]
	v_pk_add_f16 v112, v112, v113 neg_lo:[0,1] neg_hi:[0,1]
	v_pk_add_f16 v109, v164, v168
	ds_write_b64 v116, v[111:112] offset:16
	v_pk_fma_f16 v109, v109, 0.5, v160 op_sel_hi:[1,0,1] neg_lo:[1,0,0] neg_hi:[1,0,0]
	v_pk_add_f16 v111, v164, v168 neg_lo:[0,1] neg_hi:[0,1]
	v_pk_fma_f16 v115, v111, s0, v109 op_sel:[0,0,1] op_sel_hi:[1,0,0] neg_lo:[1,0,0] neg_hi:[1,0,0]
	v_pk_fma_f16 v109, v111, s0, v109 op_sel:[0,0,1] op_sel_hi:[1,0,0]
	v_pk_add_f16 v111, v166, v170
	v_pk_fma_f16 v111, v111, 0.5, v162 op_sel_hi:[1,0,1] neg_lo:[1,0,0] neg_hi:[1,0,0]
	v_pk_add_f16 v112, v166, v170 neg_lo:[0,1] neg_hi:[0,1]
	v_pk_fma_f16 v113, v112, s0, v111 op_sel:[0,0,1] op_sel_hi:[1,0,0]
	v_pk_fma_f16 v111, v112, s0, v111 op_sel:[0,0,1] op_sel_hi:[1,0,0] neg_lo:[1,0,0] neg_hi:[1,0,0]
	v_lshrrev_b32_e32 v112, 16, v111
	v_mul_f16_e32 v114, 0xbaee, v113
	v_fma_f16 v116, v112, 0.5, v114
	v_pk_mul_f16 v112, v111, s0 op_sel_hi:[1,0]
	v_pk_fma_f16 v146, v113, s2, v112 op_sel:[0,0,1] op_sel_hi:[1,1,0]
	v_pk_fma_f16 v147, v113, s2, v112 op_sel:[0,0,1] op_sel_hi:[1,1,0] neg_lo:[0,0,1] neg_hi:[0,0,1]
	v_lshrrev_b32_e32 v112, 16, v113
	v_mul_f16_e32 v111, -0.5, v111
	v_fma_f16 v148, v112, s0, v111
	v_pk_add_f16 v111, v160, v164
	v_pk_add_f16 v113, v111, v168
	;; [unrolled: 1-line block ×4, first 2 shown]
	v_bfi_b32 v111, s3, v146, v147
	v_pk_add_f16 v149, v109, v111
	v_add_f16_e32 v111, v115, v148
	v_pk_add_f16 v112, v113, v114 neg_lo:[0,1] neg_hi:[0,1]
	v_pk_add_f16 v113, v113, v114
	v_add_f16_sdwa v114, v115, v116 dst_sel:DWORD dst_unused:UNUSED_PAD src0_sel:WORD_1 src1_sel:DWORD
	v_alignbit_b32 v111, v111, v149, 16
	v_pack_b32_f16 v114, v114, v149
	ds_write2_b64 v120, v[113:114], v[111:112] offset1:1
	v_pack_b32_f16 v111, v116, v146
	v_alignbit_b32 v112, v109, v115, 16
	v_alignbit_b32 v109, v115, v109, 16
	;; [unrolled: 1-line block ×3, first 2 shown]
	v_pk_add_f16 v111, v112, v111 neg_lo:[0,1] neg_hi:[0,1]
	v_pk_add_f16 v112, v109, v113 neg_lo:[0,1] neg_hi:[0,1]
	ds_write_b64 v120, v[111:112] offset:16
	v_pk_add_f16 v111, v165, v169
	v_pk_add_f16 v114, v167, v171
	v_pk_add_f16 v112, v165, v169 neg_lo:[0,1] neg_hi:[0,1]
	v_pk_add_f16 v115, v167, v171 neg_lo:[0,1] neg_hi:[0,1]
	v_pk_fma_f16 v111, v111, 0.5, v161 op_sel_hi:[1,0,1] neg_lo:[1,0,0] neg_hi:[1,0,0]
	v_pk_fma_f16 v114, v114, 0.5, v163 op_sel_hi:[1,0,1] neg_lo:[1,0,0] neg_hi:[1,0,0]
	v_pk_fma_f16 v116, v112, s0, v111 op_sel:[0,0,1] op_sel_hi:[1,0,0] neg_lo:[1,0,0] neg_hi:[1,0,0]
	v_pk_fma_f16 v120, v112, s0, v111 op_sel:[0,0,1] op_sel_hi:[1,0,0]
	v_pk_fma_f16 v111, v115, s0, v114 op_sel:[0,0,1] op_sel_hi:[1,0,0]
	v_pk_fma_f16 v112, v115, s0, v114 op_sel:[0,0,1] op_sel_hi:[1,0,0] neg_lo:[1,0,0] neg_hi:[1,0,0]
	v_lshrrev_b32_e32 v114, 16, v112
	v_mul_f16_e32 v115, 0xbaee, v111
	v_fma_f16 v115, v114, 0.5, v115
	v_pk_mul_f16 v114, v112, s0 op_sel_hi:[1,0]
	v_pk_add_f16 v109, v161, v165
	v_pk_add_f16 v113, v163, v167
	v_pk_fma_f16 v146, v111, s2, v114 op_sel:[0,0,1] op_sel_hi:[1,1,0]
	v_pk_fma_f16 v147, v111, s2, v114 op_sel:[0,0,1] op_sel_hi:[1,1,0] neg_lo:[0,0,1] neg_hi:[0,0,1]
	v_lshrrev_b32_e32 v111, 16, v111
	v_mul_f16_e32 v112, -0.5, v112
	v_pk_add_f16 v109, v109, v169
	v_pk_add_f16 v113, v113, v171
	v_fma_f16 v148, v111, s0, v112
	v_bfi_b32 v111, s3, v146, v147
	v_pk_add_f16 v114, v120, v111
	v_add_f16_e32 v111, v116, v148
	v_pk_add_f16 v112, v109, v113 neg_lo:[0,1] neg_hi:[0,1]
	v_pk_add_f16 v113, v109, v113
	v_add_f16_sdwa v109, v116, v115 dst_sel:DWORD dst_unused:UNUSED_PAD src0_sel:WORD_1 src1_sel:DWORD
	v_alignbit_b32 v111, v111, v114, 16
	v_pack_b32_f16 v114, v109, v114
	ds_write2_b64 v117, v[113:114], v[111:112] offset1:1
	v_pack_b32_f16 v109, v115, v146
	v_alignbit_b32 v111, v120, v116, 16
	v_alignbit_b32 v112, v116, v120, 16
	;; [unrolled: 1-line block ×3, first 2 shown]
	v_pk_add_f16 v111, v111, v109 neg_lo:[0,1] neg_hi:[0,1]
	v_pk_add_f16 v112, v112, v113 neg_lo:[0,1] neg_hi:[0,1]
	ds_write_b64 v117, v[111:112] offset:16
	s_waitcnt lgkmcnt(0)
	s_barrier
	ds_read2_b32 v[111:112], v107 offset0:64 offset1:208
	ds_read2_b32 v[113:114], v106 offset1:144
	s_mov_b32 s2, 0xbda12f68
	s_mov_b32 s3, 0x3f32f684
	s_waitcnt lgkmcnt(1)
	v_lshrrev_b32_e32 v109, 16, v111
	v_mul_f16_sdwa v115, v0, v111 dst_sel:DWORD dst_unused:UNUSED_PAD src0_sel:WORD_1 src1_sel:DWORD
	v_fma_f16 v117, v0, v109, -v115
	v_mul_f16_sdwa v109, v0, v109 dst_sel:DWORD dst_unused:UNUSED_PAD src0_sel:WORD_1 src1_sel:DWORD
	v_fma_f16 v109, v0, v111, v109
	s_waitcnt lgkmcnt(0)
	v_lshrrev_b32_e32 v0, 16, v113
	ds_read2_b32 v[115:116], v105 offset0:64 offset1:208
	v_mul_f16_sdwa v111, v1, v113 dst_sel:DWORD dst_unused:UNUSED_PAD src0_sel:WORD_1 src1_sel:DWORD
	v_fma_f16 v111, v1, v0, -v111
	v_mul_f16_sdwa v0, v1, v0 dst_sel:DWORD dst_unused:UNUSED_PAD src0_sel:WORD_1 src1_sel:DWORD
	v_fma_f16 v113, v1, v113, v0
	ds_read2_b32 v[0:1], v104 offset1:144
	s_waitcnt lgkmcnt(1)
	v_lshrrev_b32_e32 v120, 16, v115
	v_mul_f16_sdwa v146, v2, v115 dst_sel:DWORD dst_unused:UNUSED_PAD src0_sel:WORD_1 src1_sel:DWORD
	v_fma_f16 v146, v2, v120, -v146
	v_mul_f16_sdwa v120, v2, v120 dst_sel:DWORD dst_unused:UNUSED_PAD src0_sel:WORD_1 src1_sel:DWORD
	v_fma_f16 v115, v2, v115, v120
	s_waitcnt lgkmcnt(0)
	v_lshrrev_b32_e32 v2, 16, v0
	v_mul_f16_sdwa v120, v3, v0 dst_sel:DWORD dst_unused:UNUSED_PAD src0_sel:WORD_1 src1_sel:DWORD
	v_fma_f16 v120, v3, v2, -v120
	v_mul_f16_sdwa v2, v3, v2 dst_sel:DWORD dst_unused:UNUSED_PAD src0_sel:WORD_1 src1_sel:DWORD
	v_fma_f16 v147, v3, v0, v2
	v_lshrrev_b32_e32 v0, 16, v112
	v_mul_f16_sdwa v2, v8, v0 dst_sel:DWORD dst_unused:UNUSED_PAD src0_sel:WORD_1 src1_sel:DWORD
	v_fma_f16 v148, v8, v112, v2
	v_mul_f16_sdwa v2, v8, v112 dst_sel:DWORD dst_unused:UNUSED_PAD src0_sel:WORD_1 src1_sel:DWORD
	v_fma_f16 v112, v8, v0, -v2
	v_lshrrev_b32_e32 v0, 16, v114
	v_mul_f16_sdwa v2, v9, v0 dst_sel:DWORD dst_unused:UNUSED_PAD src0_sel:WORD_1 src1_sel:DWORD
	v_fma_f16 v149, v9, v114, v2
	v_mul_f16_sdwa v2, v9, v114 dst_sel:DWORD dst_unused:UNUSED_PAD src0_sel:WORD_1 src1_sel:DWORD
	v_fma_f16 v114, v9, v0, -v2
	;; [unrolled: 5-line block ×3, first 2 shown]
	v_lshrrev_b32_e32 v0, 16, v1
	ds_read2_b32 v[2:3], v87 offset0:96 offset1:240
	v_mul_f16_sdwa v8, v11, v0 dst_sel:DWORD dst_unused:UNUSED_PAD src0_sel:WORD_1 src1_sel:DWORD
	v_fma_f16 v151, v11, v1, v8
	v_mul_f16_sdwa v1, v11, v1 dst_sel:DWORD dst_unused:UNUSED_PAD src0_sel:WORD_1 src1_sel:DWORD
	v_fma_f16 v152, v11, v0, -v1
	ds_read2_b32 v[0:1], v85 offset0:32 offset1:176
	s_waitcnt lgkmcnt(1)
	v_lshrrev_b32_e32 v8, 16, v2
	v_mul_f16_sdwa v9, v16, v2 dst_sel:DWORD dst_unused:UNUSED_PAD src0_sel:WORD_1 src1_sel:DWORD
	v_fma_f16 v153, v16, v8, -v9
	v_mul_f16_sdwa v8, v16, v8 dst_sel:DWORD dst_unused:UNUSED_PAD src0_sel:WORD_1 src1_sel:DWORD
	v_fma_f16 v16, v16, v2, v8
	ds_read2_b32 v[8:9], v82 offset0:96 offset1:240
	s_waitcnt lgkmcnt(1)
	v_lshrrev_b32_e32 v2, 16, v0
	v_mul_f16_sdwa v10, v17, v0 dst_sel:DWORD dst_unused:UNUSED_PAD src0_sel:WORD_1 src1_sel:DWORD
	v_fma_f16 v154, v17, v2, -v10
	ds_read2_b32 v[10:11], v83 offset0:32 offset1:176
	v_mul_f16_sdwa v2, v17, v2 dst_sel:DWORD dst_unused:UNUSED_PAD src0_sel:WORD_1 src1_sel:DWORD
	v_fma_f16 v17, v17, v0, v2
	s_waitcnt lgkmcnt(1)
	v_lshrrev_b32_e32 v0, 16, v8
	v_mul_f16_sdwa v2, v18, v8 dst_sel:DWORD dst_unused:UNUSED_PAD src0_sel:WORD_1 src1_sel:DWORD
	v_fma_f16 v155, v18, v0, -v2
	v_mul_f16_sdwa v0, v18, v0 dst_sel:DWORD dst_unused:UNUSED_PAD src0_sel:WORD_1 src1_sel:DWORD
	v_fma_f16 v18, v18, v8, v0
	s_waitcnt lgkmcnt(0)
	v_lshrrev_b32_e32 v0, 16, v10
	v_mul_f16_sdwa v2, v19, v10 dst_sel:DWORD dst_unused:UNUSED_PAD src0_sel:WORD_1 src1_sel:DWORD
	v_fma_f16 v156, v19, v0, -v2
	v_mul_f16_sdwa v0, v19, v0 dst_sel:DWORD dst_unused:UNUSED_PAD src0_sel:WORD_1 src1_sel:DWORD
	v_fma_f16 v19, v19, v10, v0
	v_lshrrev_b32_e32 v0, 16, v3
	v_mul_f16_sdwa v2, v12, v0 dst_sel:DWORD dst_unused:UNUSED_PAD src0_sel:WORD_1 src1_sel:DWORD
	v_fma_f16 v157, v12, v3, v2
	v_mul_f16_sdwa v2, v12, v3 dst_sel:DWORD dst_unused:UNUSED_PAD src0_sel:WORD_1 src1_sel:DWORD
	v_fma_f16 v12, v12, v0, -v2
	v_lshrrev_b32_e32 v0, 16, v1
	v_mul_f16_sdwa v2, v13, v0 dst_sel:DWORD dst_unused:UNUSED_PAD src0_sel:WORD_1 src1_sel:DWORD
	v_fma_f16 v158, v13, v1, v2
	v_mul_f16_sdwa v1, v13, v1 dst_sel:DWORD dst_unused:UNUSED_PAD src0_sel:WORD_1 src1_sel:DWORD
	v_fma_f16 v13, v13, v0, -v1
	v_lshrrev_b32_e32 v0, 16, v9
	v_mul_f16_sdwa v1, v14, v0 dst_sel:DWORD dst_unused:UNUSED_PAD src0_sel:WORD_1 src1_sel:DWORD
	v_fma_f16 v159, v14, v9, v1
	v_mul_f16_sdwa v1, v14, v9 dst_sel:DWORD dst_unused:UNUSED_PAD src0_sel:WORD_1 src1_sel:DWORD
	v_lshrrev_b32_e32 v2, 16, v11
	v_fma_f16 v14, v14, v0, -v1
	ds_read2_b32 v[0:1], v102 offset0:64 offset1:208
	v_mul_f16_sdwa v3, v15, v2 dst_sel:DWORD dst_unused:UNUSED_PAD src0_sel:WORD_1 src1_sel:DWORD
	v_fma_f16 v160, v15, v11, v3
	v_mul_f16_sdwa v3, v15, v11 dst_sel:DWORD dst_unused:UNUSED_PAD src0_sel:WORD_1 src1_sel:DWORD
	v_fma_f16 v15, v15, v2, -v3
	ds_read2_b32 v[2:3], v100 offset1:144
	s_waitcnt lgkmcnt(1)
	v_lshrrev_b32_e32 v8, 16, v0
	v_mul_f16_sdwa v9, v110, v0 dst_sel:DWORD dst_unused:UNUSED_PAD src0_sel:WORD_1 src1_sel:DWORD
	v_fma_f16 v9, v110, v8, -v9
	v_mul_f16_sdwa v8, v110, v8 dst_sel:DWORD dst_unused:UNUSED_PAD src0_sel:WORD_1 src1_sel:DWORD
	v_fma_f16 v0, v110, v0, v8
	s_waitcnt lgkmcnt(0)
	v_lshrrev_b32_e32 v8, 16, v2
	v_add_f16_e32 v10, v8, v111
	v_add_f16_e32 v110, v10, v120
	;; [unrolled: 1-line block ×3, first 2 shown]
	v_sub_f16_e32 v161, v111, v120
	v_fma_f16 v111, v10, -0.5, v8
	v_add_f16_e32 v8, v2, v113
	v_add_f16_e32 v10, v117, v146
	;; [unrolled: 1-line block ×4, first 2 shown]
	v_sub_f16_e32 v113, v113, v147
	v_add_f16_e32 v147, v10, v9
	v_sub_f16_e32 v162, v146, v9
	v_add_f16_e32 v9, v146, v9
	v_fma_f16 v117, v9, -0.5, v117
	v_add_f16_e32 v9, v115, v0
	v_fma_f16 v146, v9, -0.5, v109
	v_add_f16_e32 v9, v109, v115
	v_add_f16_e32 v109, v9, v0
	v_sub_f16_e32 v0, v115, v0
	v_fma_f16 v10, v0, s0, v117
	v_fma_f16 v0, v0, s1, v117
	v_fma_f16 v2, v8, -0.5, v2
	v_fma_f16 v166, v113, s0, v111
	v_fma_f16 v111, v113, s1, v111
	;; [unrolled: 1-line block ×3, first 2 shown]
	v_mul_f16_e32 v117, 0xbaee, v0
	v_mul_f16_e32 v0, -0.5, v0
	v_fma_f16 v9, v162, s1, v146
	v_mul_f16_e32 v11, 0xbaee, v10
	v_mul_f16_e32 v10, 0.5, v10
	v_fma_f16 v165, v161, s1, v2
	v_fma_f16 v2, v161, s0, v2
	v_fma_f16 v117, v113, -0.5, v117
	v_fma_f16 v0, v113, s0, v0
	v_fma_f16 v115, v9, 0.5, v11
	v_fma_f16 v163, v9, s0, v10
	v_add_f16_e32 v9, v120, v109
	v_add_f16_e32 v10, v110, v147
	v_sub_f16_e32 v109, v120, v109
	v_sub_f16_e32 v110, v110, v147
	v_add_f16_e32 v113, v2, v117
	v_add_f16_e32 v120, v111, v0
	v_pack_b32_f16 v164, v9, v10
	v_add_f16_e32 v8, v165, v115
	v_add_f16_e32 v9, v166, v163
	v_pack_b32_f16 v113, v113, v120
	v_pack_b32_f16 v109, v109, v110
	;; [unrolled: 1-line block ×3, first 2 shown]
	ds_read2_b32 v[8:9], v88 offset0:32 offset1:176
	ds_read2_b32 v[10:11], v81 offset0:96 offset1:240
	s_waitcnt lgkmcnt(0)
	s_barrier
	ds_write2_b32 v122, v113, v109 offset0:12 offset1:18
	v_sub_f16_e32 v109, v165, v115
	v_sub_f16_e32 v2, v2, v117
	;; [unrolled: 1-line block ×4, first 2 shown]
	v_pack_b32_f16 v109, v109, v110
	v_pack_b32_f16 v0, v2, v0
	ds_write2_b32 v122, v109, v0 offset0:24 offset1:30
	v_lshrrev_b32_e32 v0, 16, v1
	v_mul_f16_sdwa v2, v121, v0 dst_sel:DWORD dst_unused:UNUSED_PAD src0_sel:WORD_1 src1_sel:DWORD
	v_fma_f16 v2, v121, v1, v2
	v_mul_f16_sdwa v1, v121, v1 dst_sel:DWORD dst_unused:UNUSED_PAD src0_sel:WORD_1 src1_sel:DWORD
	v_lshrrev_b32_e32 v109, 16, v3
	v_fma_f16 v0, v121, v0, -v1
	v_add_f16_e32 v110, v109, v114
	v_sub_f16_e32 v111, v114, v152
	v_add_f16_e32 v113, v114, v152
	v_add_f16_e32 v114, v112, v116
	;; [unrolled: 1-line block ×3, first 2 shown]
	v_sub_f16_e32 v115, v116, v0
	v_add_f16_e32 v0, v116, v0
	v_add_f16_e32 v116, v148, v150
	;; [unrolled: 1-line block ×3, first 2 shown]
	v_fma_f16 v0, v0, -0.5, v112
	v_add_f16_e32 v112, v150, v2
	v_add_f16_e32 v116, v116, v2
	v_sub_f16_e32 v2, v150, v2
	v_fma_f16 v1, v1, -0.5, v3
	v_add_f16_e32 v3, v3, v149
	v_fma_f16 v112, v112, -0.5, v148
	v_fma_f16 v120, v2, s0, v0
	v_add_f16_e32 v110, v110, v152
	v_add_f16_e32 v3, v3, v151
	v_fma_f16 v117, v115, s1, v112
	v_mul_f16_e32 v121, 0xbaee, v120
	v_mul_f16_e32 v120, 0.5, v120
	ds_write2_b32 v122, v164, v167 offset1:6
	v_fma_f16 v121, v117, 0.5, v121
	v_fma_f16 v117, v117, s0, v120
	v_add_f16_e32 v120, v3, v116
	v_add_f16_e32 v122, v110, v114
	v_fma_f16 v0, v2, s1, v0
	v_fma_f16 v109, v113, -0.5, v109
	v_sub_f16_e32 v113, v149, v151
	v_pack_b32_f16 v120, v120, v122
	v_fma_f16 v122, v111, s1, v1
	v_fma_f16 v1, v111, s0, v1
	;; [unrolled: 1-line block ×3, first 2 shown]
	v_mul_f16_e32 v2, 0xbaee, v0
	v_mul_f16_e32 v0, -0.5, v0
	v_fma_f16 v146, v113, s0, v109
	v_fma_f16 v109, v113, s1, v109
	v_fma_f16 v2, v111, -0.5, v2
	v_fma_f16 v0, v111, s0, v0
	v_sub_f16_e32 v3, v3, v116
	v_sub_f16_e32 v110, v110, v114
	v_add_f16_e32 v111, v1, v2
	v_add_f16_e32 v112, v109, v0
	v_pack_b32_f16 v111, v111, v112
	v_pack_b32_f16 v3, v3, v110
	ds_write2_b32 v123, v111, v3 offset0:12 offset1:18
	v_sub_f16_e32 v3, v122, v121
	v_sub_f16_e32 v1, v1, v2
	;; [unrolled: 1-line block ×4, first 2 shown]
	v_pack_b32_f16 v2, v3, v2
	v_pack_b32_f16 v0, v1, v0
	ds_write2_b32 v123, v2, v0 offset0:24 offset1:30
	v_lshrrev_b32_e32 v0, 16, v10
	v_mul_f16_sdwa v1, v119, v10 dst_sel:DWORD dst_unused:UNUSED_PAD src0_sel:WORD_1 src1_sel:DWORD
	v_fma_f16 v1, v119, v0, -v1
	v_mul_f16_sdwa v0, v119, v0 dst_sel:DWORD dst_unused:UNUSED_PAD src0_sel:WORD_1 src1_sel:DWORD
	v_lshrrev_b32_e32 v2, 16, v8
	v_add_f16_e32 v109, v154, v156
	v_fma_f16 v0, v119, v10, v0
	v_add_f16_e32 v3, v2, v154
	v_fma_f16 v2, v109, -0.5, v2
	v_add_f16_e32 v109, v8, v17
	v_add_f16_e32 v109, v109, v19
	;; [unrolled: 1-line block ×3, first 2 shown]
	v_sub_f16_e32 v17, v17, v19
	v_add_f16_e32 v19, v153, v155
	v_add_f16_e32 v112, v18, v0
	;; [unrolled: 1-line block ×3, first 2 shown]
	v_sub_f16_e32 v111, v155, v1
	v_add_f16_e32 v1, v155, v1
	v_fma_f16 v112, v112, -0.5, v16
	v_add_f16_e32 v16, v16, v18
	v_fma_f16 v1, v1, -0.5, v153
	v_add_f16_e32 v16, v16, v0
	v_sub_f16_e32 v0, v18, v0
	v_fma_f16 v113, v0, s0, v1
	v_add_f16_e32 v3, v3, v156
	v_sub_f16_e32 v10, v154, v156
	v_fma_f16 v18, v111, s1, v112
	v_mul_f16_e32 v114, 0xbaee, v113
	v_mul_f16_e32 v113, 0.5, v113
	v_fma_f16 v8, v110, -0.5, v8
	v_fma_f16 v0, v0, s1, v1
	v_fma_f16 v114, v18, 0.5, v114
	v_fma_f16 v18, v18, s0, v113
	v_add_f16_e32 v113, v109, v16
	v_add_f16_e32 v115, v3, v19
	v_fma_f16 v110, v10, s1, v8
	v_fma_f16 v8, v10, s0, v8
	;; [unrolled: 1-line block ×3, first 2 shown]
	v_mul_f16_e32 v1, 0xbaee, v0
	v_mul_f16_e32 v0, -0.5, v0
	v_pack_b32_f16 v113, v113, v115
	v_fma_f16 v115, v17, s0, v2
	v_fma_f16 v2, v17, s1, v2
	v_fma_f16 v1, v10, -0.5, v1
	v_fma_f16 v0, v10, s0, v0
	v_add_f16_e32 v147, v122, v121
	v_add_f16_e32 v148, v146, v117
	v_sub_f16_e32 v10, v109, v16
	v_sub_f16_e32 v3, v3, v19
	v_add_f16_e32 v16, v8, v1
	v_add_f16_e32 v17, v2, v0
	v_pack_b32_f16 v147, v147, v148
	v_pack_b32_f16 v16, v16, v17
	;; [unrolled: 1-line block ×3, first 2 shown]
	ds_write2_b32 v123, v120, v147 offset1:6
	ds_write2_b32 v125, v16, v3 offset0:12 offset1:18
	v_sub_f16_e32 v3, v110, v114
	v_sub_f16_e32 v1, v8, v1
	;; [unrolled: 1-line block ×4, first 2 shown]
	v_pack_b32_f16 v2, v3, v8
	v_pack_b32_f16 v0, v1, v0
	ds_write2_b32 v125, v2, v0 offset0:24 offset1:30
	v_lshrrev_b32_e32 v0, 16, v11
	v_mul_f16_sdwa v2, v118, v11 dst_sel:DWORD dst_unused:UNUSED_PAD src0_sel:WORD_1 src1_sel:DWORD
	v_mul_f16_sdwa v1, v118, v0 dst_sel:DWORD dst_unused:UNUSED_PAD src0_sel:WORD_1 src1_sel:DWORD
	v_fma_f16 v0, v118, v0, -v2
	v_add_f16_e32 v2, v158, v160
	v_lshrrev_b32_e32 v3, 16, v9
	v_fma_f16 v1, v118, v11, v1
	v_fma_f16 v2, v2, -0.5, v9
	v_add_f16_e32 v8, v9, v158
	v_add_f16_e32 v9, v3, v13
	v_sub_f16_e32 v10, v13, v15
	v_add_f16_e32 v11, v13, v15
	v_add_f16_e32 v13, v12, v14
	;; [unrolled: 1-line block ×4, first 2 shown]
	v_sub_f16_e32 v15, v14, v0
	v_add_f16_e32 v0, v14, v0
	v_add_f16_e32 v14, v157, v159
	v_fma_f16 v0, v0, -0.5, v12
	v_add_f16_e32 v12, v159, v1
	v_add_f16_e32 v14, v14, v1
	v_sub_f16_e32 v1, v159, v1
	v_fma_f16 v12, v12, -0.5, v157
	v_fma_f16 v17, v1, s0, v0
	v_add_f16_e32 v117, v115, v18
	v_add_f16_e32 v8, v8, v160
	v_fma_f16 v16, v15, s1, v12
	v_mul_f16_e32 v18, 0xbaee, v17
	v_mul_f16_e32 v17, 0.5, v17
	v_fma_f16 v18, v16, 0.5, v18
	v_fma_f16 v16, v16, s0, v17
	v_add_f16_e32 v17, v8, v14
	v_add_f16_e32 v19, v9, v13
	v_fma_f16 v0, v1, s1, v0
	v_fma_f16 v3, v11, -0.5, v3
	v_sub_f16_e32 v11, v158, v160
	v_pack_b32_f16 v17, v17, v19
	v_fma_f16 v19, v10, s1, v2
	v_fma_f16 v2, v10, s0, v2
	;; [unrolled: 1-line block ×3, first 2 shown]
	v_mul_f16_e32 v1, 0xbaee, v0
	v_mul_f16_e32 v0, -0.5, v0
	v_fma_f16 v109, v11, s0, v3
	v_fma_f16 v3, v11, s1, v3
	v_fma_f16 v1, v10, -0.5, v1
	v_fma_f16 v0, v10, s0, v0
	v_add_f16_e32 v116, v110, v114
	v_sub_f16_e32 v8, v8, v14
	v_sub_f16_e32 v9, v9, v13
	v_add_f16_e32 v10, v2, v1
	v_add_f16_e32 v11, v3, v0
	v_pack_b32_f16 v116, v116, v117
	v_pack_b32_f16 v10, v10, v11
	;; [unrolled: 1-line block ×3, first 2 shown]
	ds_write2_b32 v125, v113, v116 offset1:6
	v_add_f16_e32 v110, v19, v18
	v_add_f16_e32 v111, v109, v16
	ds_write2_b32 v126, v10, v8 offset0:12 offset1:18
	v_sub_f16_e32 v8, v19, v18
	v_sub_f16_e32 v1, v2, v1
	;; [unrolled: 1-line block ×4, first 2 shown]
	v_pack_b32_f16 v110, v110, v111
	v_pack_b32_f16 v2, v8, v2
	;; [unrolled: 1-line block ×3, first 2 shown]
	ds_write2_b32 v126, v17, v110 offset1:6
	ds_write2_b32 v126, v2, v0 offset0:24 offset1:30
	s_waitcnt lgkmcnt(0)
	s_barrier
	ds_read2_b32 v[0:1], v107 offset0:64 offset1:208
	ds_read2_b32 v[2:3], v106 offset1:144
	s_waitcnt lgkmcnt(1)
	v_lshrrev_b32_e32 v8, 16, v0
	v_mul_f16_sdwa v9, v4, v0 dst_sel:DWORD dst_unused:UNUSED_PAD src0_sel:WORD_1 src1_sel:DWORD
	v_fma_f16 v10, v4, v8, -v9
	v_mul_f16_sdwa v8, v4, v8 dst_sel:DWORD dst_unused:UNUSED_PAD src0_sel:WORD_1 src1_sel:DWORD
	v_fma_f16 v11, v4, v0, v8
	s_waitcnt lgkmcnt(0)
	v_lshrrev_b32_e32 v0, 16, v2
	ds_read2_b32 v[8:9], v105 offset0:64 offset1:208
	v_mul_f16_sdwa v4, v5, v2 dst_sel:DWORD dst_unused:UNUSED_PAD src0_sel:WORD_1 src1_sel:DWORD
	v_fma_f16 v12, v5, v0, -v4
	v_mul_f16_sdwa v0, v5, v0 dst_sel:DWORD dst_unused:UNUSED_PAD src0_sel:WORD_1 src1_sel:DWORD
	v_fma_f16 v13, v5, v2, v0
	ds_read2_b32 v[4:5], v104 offset1:144
	s_waitcnt lgkmcnt(1)
	v_lshrrev_b32_e32 v0, 16, v8
	v_mul_f16_sdwa v2, v6, v8 dst_sel:DWORD dst_unused:UNUSED_PAD src0_sel:WORD_1 src1_sel:DWORD
	v_fma_f16 v14, v6, v0, -v2
	v_mul_f16_sdwa v0, v6, v0 dst_sel:DWORD dst_unused:UNUSED_PAD src0_sel:WORD_1 src1_sel:DWORD
	v_fma_f16 v8, v6, v8, v0
	s_waitcnt lgkmcnt(0)
	v_lshrrev_b32_e32 v0, 16, v4
	v_mul_f16_sdwa v2, v7, v4 dst_sel:DWORD dst_unused:UNUSED_PAD src0_sel:WORD_1 src1_sel:DWORD
	v_fma_f16 v15, v7, v0, -v2
	v_mul_f16_sdwa v0, v7, v0 dst_sel:DWORD dst_unused:UNUSED_PAD src0_sel:WORD_1 src1_sel:DWORD
	v_fma_f16 v16, v7, v4, v0
	v_lshrrev_b32_e32 v0, 16, v1
	v_mul_f16_sdwa v2, v28, v0 dst_sel:DWORD dst_unused:UNUSED_PAD src0_sel:WORD_1 src1_sel:DWORD
	v_fma_f16 v17, v28, v1, v2
	v_mul_f16_sdwa v1, v28, v1 dst_sel:DWORD dst_unused:UNUSED_PAD src0_sel:WORD_1 src1_sel:DWORD
	v_fma_f16 v18, v28, v0, -v1
	v_lshrrev_b32_e32 v0, 16, v3
	v_mul_f16_sdwa v1, v29, v0 dst_sel:DWORD dst_unused:UNUSED_PAD src0_sel:WORD_1 src1_sel:DWORD
	v_fma_f16 v19, v29, v3, v1
	v_mul_f16_sdwa v1, v29, v3 dst_sel:DWORD dst_unused:UNUSED_PAD src0_sel:WORD_1 src1_sel:DWORD
	v_fma_f16 v28, v29, v0, -v1
	;; [unrolled: 5-line block ×3, first 2 shown]
	v_lshrrev_b32_e32 v2, 16, v5
	ds_read2_b32 v[0:1], v87 offset0:96 offset1:240
	v_mul_f16_sdwa v3, v31, v2 dst_sel:DWORD dst_unused:UNUSED_PAD src0_sel:WORD_1 src1_sel:DWORD
	v_fma_f16 v30, v31, v5, v3
	v_mul_f16_sdwa v3, v31, v5 dst_sel:DWORD dst_unused:UNUSED_PAD src0_sel:WORD_1 src1_sel:DWORD
	v_fma_f16 v31, v31, v2, -v3
	ds_read2_b32 v[2:3], v85 offset0:32 offset1:176
	s_waitcnt lgkmcnt(1)
	v_lshrrev_b32_e32 v4, 16, v0
	v_mul_f16_sdwa v5, v24, v0 dst_sel:DWORD dst_unused:UNUSED_PAD src0_sel:WORD_1 src1_sel:DWORD
	v_fma_f16 v109, v24, v4, -v5
	v_mul_f16_sdwa v4, v24, v4 dst_sel:DWORD dst_unused:UNUSED_PAD src0_sel:WORD_1 src1_sel:DWORD
	v_fma_f16 v24, v24, v0, v4
	ds_read2_b32 v[4:5], v82 offset0:96 offset1:240
	s_waitcnt lgkmcnt(1)
	v_lshrrev_b32_e32 v0, 16, v2
	v_mul_f16_sdwa v6, v25, v2 dst_sel:DWORD dst_unused:UNUSED_PAD src0_sel:WORD_1 src1_sel:DWORD
	v_fma_f16 v110, v25, v0, -v6
	ds_read2_b32 v[6:7], v83 offset0:32 offset1:176
	v_mul_f16_sdwa v0, v25, v0 dst_sel:DWORD dst_unused:UNUSED_PAD src0_sel:WORD_1 src1_sel:DWORD
	v_fma_f16 v25, v25, v2, v0
	s_waitcnt lgkmcnt(1)
	v_lshrrev_b32_e32 v0, 16, v4
	v_mul_f16_sdwa v2, v26, v4 dst_sel:DWORD dst_unused:UNUSED_PAD src0_sel:WORD_1 src1_sel:DWORD
	v_fma_f16 v111, v26, v0, -v2
	v_mul_f16_sdwa v0, v26, v0 dst_sel:DWORD dst_unused:UNUSED_PAD src0_sel:WORD_1 src1_sel:DWORD
	v_fma_f16 v26, v26, v4, v0
	s_waitcnt lgkmcnt(0)
	v_lshrrev_b32_e32 v0, 16, v6
	v_mul_f16_sdwa v2, v27, v6 dst_sel:DWORD dst_unused:UNUSED_PAD src0_sel:WORD_1 src1_sel:DWORD
	v_fma_f16 v112, v27, v0, -v2
	v_mul_f16_sdwa v0, v27, v0 dst_sel:DWORD dst_unused:UNUSED_PAD src0_sel:WORD_1 src1_sel:DWORD
	v_fma_f16 v27, v27, v6, v0
	v_lshrrev_b32_e32 v0, 16, v1
	v_mul_f16_sdwa v2, v20, v0 dst_sel:DWORD dst_unused:UNUSED_PAD src0_sel:WORD_1 src1_sel:DWORD
	v_fma_f16 v113, v20, v1, v2
	v_mul_f16_sdwa v1, v20, v1 dst_sel:DWORD dst_unused:UNUSED_PAD src0_sel:WORD_1 src1_sel:DWORD
	v_fma_f16 v20, v20, v0, -v1
	v_lshrrev_b32_e32 v0, 16, v3
	v_mul_f16_sdwa v1, v21, v0 dst_sel:DWORD dst_unused:UNUSED_PAD src0_sel:WORD_1 src1_sel:DWORD
	v_fma_f16 v114, v21, v3, v1
	v_mul_f16_sdwa v1, v21, v3 dst_sel:DWORD dst_unused:UNUSED_PAD src0_sel:WORD_1 src1_sel:DWORD
	v_fma_f16 v21, v21, v0, -v1
	v_lshrrev_b32_e32 v0, 16, v5
	v_mul_f16_sdwa v1, v22, v0 dst_sel:DWORD dst_unused:UNUSED_PAD src0_sel:WORD_1 src1_sel:DWORD
	v_fma_f16 v115, v22, v5, v1
	v_mul_f16_sdwa v1, v22, v5 dst_sel:DWORD dst_unused:UNUSED_PAD src0_sel:WORD_1 src1_sel:DWORD
	v_lshrrev_b32_e32 v2, 16, v7
	v_fma_f16 v22, v22, v0, -v1
	ds_read2_b32 v[0:1], v102 offset0:64 offset1:208
	v_mul_f16_sdwa v3, v23, v2 dst_sel:DWORD dst_unused:UNUSED_PAD src0_sel:WORD_1 src1_sel:DWORD
	v_fma_f16 v116, v23, v7, v3
	v_mul_f16_sdwa v3, v23, v7 dst_sel:DWORD dst_unused:UNUSED_PAD src0_sel:WORD_1 src1_sel:DWORD
	v_fma_f16 v23, v23, v2, -v3
	ds_read2_b32 v[2:3], v100 offset1:144
	s_waitcnt lgkmcnt(1)
	v_lshrrev_b32_e32 v4, 16, v0
	v_mul_f16_sdwa v5, v124, v0 dst_sel:DWORD dst_unused:UNUSED_PAD src0_sel:WORD_1 src1_sel:DWORD
	v_fma_f16 v5, v124, v4, -v5
	v_mul_f16_sdwa v4, v124, v4 dst_sel:DWORD dst_unused:UNUSED_PAD src0_sel:WORD_1 src1_sel:DWORD
	v_fma_f16 v0, v124, v0, v4
	s_waitcnt lgkmcnt(0)
	v_lshrrev_b32_e32 v4, 16, v2
	v_add_f16_e32 v6, v4, v12
	v_add_f16_e32 v117, v6, v15
	;; [unrolled: 1-line block ×3, first 2 shown]
	v_sub_f16_e32 v118, v12, v15
	v_fma_f16 v12, v6, -0.5, v4
	v_add_f16_e32 v4, v2, v13
	v_add_f16_e32 v6, v10, v14
	;; [unrolled: 1-line block ×4, first 2 shown]
	v_sub_f16_e32 v13, v13, v16
	v_add_f16_e32 v16, v6, v5
	v_sub_f16_e32 v119, v14, v5
	v_add_f16_e32 v5, v14, v5
	v_fma_f16 v10, v5, -0.5, v10
	v_add_f16_e32 v5, v8, v0
	v_fma_f16 v14, v5, -0.5, v11
	v_add_f16_e32 v5, v11, v8
	v_add_f16_e32 v11, v5, v0
	v_sub_f16_e32 v0, v8, v0
	v_fma_f16 v6, v0, s0, v10
	v_fma_f16 v0, v0, s1, v10
	;; [unrolled: 1-line block ×3, first 2 shown]
	v_mul_f16_e32 v7, 0xbaee, v6
	v_mul_f16_e32 v6, 0.5, v6
	v_fma_f16 v2, v4, -0.5, v2
	v_fma_f16 v123, v13, s0, v12
	v_fma_f16 v12, v13, s1, v12
	;; [unrolled: 1-line block ×3, first 2 shown]
	v_mul_f16_e32 v10, 0xbaee, v0
	v_mul_f16_e32 v0, -0.5, v0
	v_fma_f16 v8, v5, 0.5, v7
	v_fma_f16 v120, v5, s0, v6
	v_fma_f16 v122, v118, s1, v2
	;; [unrolled: 1-line block ×3, first 2 shown]
	v_fma_f16 v10, v13, -0.5, v10
	v_fma_f16 v0, v13, s0, v0
	v_add_f16_e32 v5, v15, v11
	v_add_f16_e32 v6, v117, v16
	;; [unrolled: 1-line block ×3, first 2 shown]
	v_sub_f16_e32 v11, v15, v11
	v_add_f16_e32 v14, v2, v10
	v_add_f16_e32 v15, v12, v0
	v_sub_f16_e32 v8, v122, v8
	v_sub_f16_e32 v2, v2, v10
	;; [unrolled: 1-line block ×4, first 2 shown]
	v_pack_b32_f16 v121, v5, v6
	v_add_f16_e32 v5, v123, v120
	v_pack_b32_f16 v8, v8, v10
	v_pack_b32_f16 v0, v2, v0
	;; [unrolled: 1-line block ×3, first 2 shown]
	ds_read2_b32 v[4:5], v88 offset0:32 offset1:176
	ds_read2_b32 v[6:7], v81 offset0:96 offset1:240
	s_waitcnt lgkmcnt(0)
	s_barrier
	ds_write2_b32 v130, v8, v0 offset0:144 offset1:180
	v_lshrrev_b32_e32 v0, 16, v1
	v_mul_f16_sdwa v2, v129, v0 dst_sel:DWORD dst_unused:UNUSED_PAD src0_sel:WORD_1 src1_sel:DWORD
	v_sub_f16_e32 v13, v117, v16
	v_fma_f16 v2, v129, v1, v2
	v_mul_f16_sdwa v1, v129, v1 dst_sel:DWORD dst_unused:UNUSED_PAD src0_sel:WORD_1 src1_sel:DWORD
	v_pack_b32_f16 v14, v14, v15
	v_pack_b32_f16 v11, v11, v13
	v_fma_f16 v0, v129, v0, -v1
	v_add_f16_e32 v13, v18, v9
	ds_write2_b32 v130, v14, v11 offset0:72 offset1:108
	v_add_f16_e32 v13, v13, v0
	v_sub_f16_e32 v14, v9, v0
	v_add_f16_e32 v0, v9, v0
	v_add_f16_e32 v15, v17, v29
	;; [unrolled: 1-line block ×3, first 2 shown]
	v_lshrrev_b32_e32 v8, 16, v3
	v_fma_f16 v0, v0, -0.5, v18
	v_add_f16_e32 v9, v29, v2
	v_add_f16_e32 v15, v15, v2
	v_sub_f16_e32 v2, v29, v2
	v_fma_f16 v1, v1, -0.5, v3
	v_add_f16_e32 v3, v3, v19
	v_add_f16_e32 v10, v8, v28
	v_fma_f16 v9, v9, -0.5, v17
	v_fma_f16 v17, v2, s0, v0
	v_add_f16_e32 v10, v10, v31
	v_add_f16_e32 v12, v28, v31
	;; [unrolled: 1-line block ×3, first 2 shown]
	v_fma_f16 v16, v14, s1, v9
	v_mul_f16_e32 v18, 0xbaee, v17
	v_mul_f16_e32 v17, 0.5, v17
	v_fma_f16 v0, v2, s1, v0
	v_sub_f16_e32 v11, v28, v31
	v_fma_f16 v8, v12, -0.5, v8
	v_sub_f16_e32 v12, v19, v30
	v_fma_f16 v18, v16, 0.5, v18
	v_fma_f16 v16, v16, s0, v17
	v_add_f16_e32 v17, v3, v15
	v_add_f16_e32 v19, v10, v13
	v_fma_f16 v9, v14, s0, v9
	v_mul_f16_e32 v2, 0xbaee, v0
	v_mul_f16_e32 v0, -0.5, v0
	v_pack_b32_f16 v17, v17, v19
	v_fma_f16 v19, v11, s1, v1
	v_fma_f16 v28, v12, s0, v8
	;; [unrolled: 1-line block ×4, first 2 shown]
	v_fma_f16 v2, v9, -0.5, v2
	v_fma_f16 v0, v9, s0, v0
	v_sub_f16_e32 v3, v3, v15
	v_sub_f16_e32 v9, v10, v13
	v_add_f16_e32 v10, v1, v2
	v_add_f16_e32 v11, v8, v0
	v_pack_b32_f16 v10, v10, v11
	v_pack_b32_f16 v3, v3, v9
	ds_write2_b32 v130, v121, v124 offset1:36
	ds_write2_b32 v131, v10, v3 offset0:72 offset1:108
	v_sub_f16_e32 v3, v19, v18
	v_sub_f16_e32 v1, v1, v2
	;; [unrolled: 1-line block ×4, first 2 shown]
	v_pack_b32_f16 v2, v3, v2
	v_pack_b32_f16 v0, v1, v0
	ds_write2_b32 v131, v2, v0 offset0:144 offset1:180
	v_lshrrev_b32_e32 v0, 16, v6
	v_mul_f16_sdwa v1, v128, v6 dst_sel:DWORD dst_unused:UNUSED_PAD src0_sel:WORD_1 src1_sel:DWORD
	v_fma_f16 v1, v128, v0, -v1
	v_mul_f16_sdwa v0, v128, v0 dst_sel:DWORD dst_unused:UNUSED_PAD src0_sel:WORD_1 src1_sel:DWORD
	v_add_f16_e32 v11, v109, v111
	v_fma_f16 v0, v128, v6, v0
	v_add_f16_e32 v11, v11, v1
	v_sub_f16_e32 v12, v111, v1
	v_add_f16_e32 v1, v111, v1
	v_add_f16_e32 v14, v24, v26
	;; [unrolled: 1-line block ×4, first 2 shown]
	v_lshrrev_b32_e32 v2, 16, v4
	v_add_f16_e32 v8, v110, v112
	v_fma_f16 v1, v1, -0.5, v109
	v_add_f16_e32 v13, v26, v0
	v_add_f16_e32 v14, v14, v0
	v_sub_f16_e32 v0, v26, v0
	v_pack_b32_f16 v29, v29, v30
	v_add_f16_e32 v3, v2, v110
	v_fma_f16 v2, v8, -0.5, v2
	v_add_f16_e32 v8, v4, v25
	v_add_f16_e32 v9, v25, v27
	v_fma_f16 v13, v13, -0.5, v24
	v_fma_f16 v16, v0, s0, v1
	ds_write2_b32 v131, v17, v29 offset1:36
	v_add_f16_e32 v3, v3, v112
	v_sub_f16_e32 v6, v110, v112
	v_add_f16_e32 v8, v8, v27
	v_fma_f16 v15, v12, s1, v13
	v_mul_f16_e32 v17, 0xbaee, v16
	v_mul_f16_e32 v16, 0.5, v16
	v_fma_f16 v4, v9, -0.5, v4
	v_fma_f16 v0, v0, s1, v1
	v_sub_f16_e32 v10, v25, v27
	v_fma_f16 v17, v15, 0.5, v17
	v_fma_f16 v15, v15, s0, v16
	v_add_f16_e32 v16, v8, v14
	v_add_f16_e32 v18, v3, v11
	v_fma_f16 v9, v6, s1, v4
	v_fma_f16 v4, v6, s0, v4
	;; [unrolled: 1-line block ×3, first 2 shown]
	v_mul_f16_e32 v1, 0xbaee, v0
	v_mul_f16_e32 v0, -0.5, v0
	v_pack_b32_f16 v16, v16, v18
	v_fma_f16 v18, v10, s0, v2
	v_fma_f16 v2, v10, s1, v2
	v_fma_f16 v1, v6, -0.5, v1
	v_fma_f16 v0, v6, s0, v0
	v_sub_f16_e32 v6, v8, v14
	v_sub_f16_e32 v3, v3, v11
	v_add_f16_e32 v8, v4, v1
	v_add_f16_e32 v10, v2, v0
	v_pack_b32_f16 v8, v8, v10
	v_pack_b32_f16 v3, v6, v3
	ds_write2_b32 v132, v8, v3 offset0:72 offset1:108
	v_sub_f16_e32 v3, v9, v17
	v_sub_f16_e32 v1, v4, v1
	;; [unrolled: 1-line block ×4, first 2 shown]
	v_pack_b32_f16 v2, v3, v4
	v_pack_b32_f16 v0, v1, v0
	ds_write2_b32 v132, v2, v0 offset0:144 offset1:180
	v_lshrrev_b32_e32 v0, 16, v7
	v_mul_f16_sdwa v2, v127, v7 dst_sel:DWORD dst_unused:UNUSED_PAD src0_sel:WORD_1 src1_sel:DWORD
	v_mul_f16_sdwa v1, v127, v0 dst_sel:DWORD dst_unused:UNUSED_PAD src0_sel:WORD_1 src1_sel:DWORD
	v_fma_f16 v0, v127, v0, -v2
	v_add_f16_e32 v8, v20, v22
	v_add_f16_e32 v19, v9, v17
	v_fma_f16 v1, v127, v7, v1
	v_add_f16_e32 v8, v8, v0
	v_sub_f16_e32 v9, v22, v0
	v_add_f16_e32 v0, v22, v0
	v_add_f16_e32 v11, v113, v115
	v_add_f16_e32 v2, v114, v116
	v_lshrrev_b32_e32 v3, 16, v5
	v_fma_f16 v0, v0, -0.5, v20
	v_add_f16_e32 v10, v115, v1
	v_add_f16_e32 v11, v11, v1
	v_sub_f16_e32 v1, v115, v1
	v_fma_f16 v2, v2, -0.5, v5
	v_add_f16_e32 v4, v5, v114
	v_add_f16_e32 v5, v3, v21
	v_fma_f16 v10, v10, -0.5, v113
	v_fma_f16 v13, v1, s0, v0
	v_add_f16_e32 v5, v5, v23
	v_add_f16_e32 v4, v4, v116
	v_fma_f16 v12, v9, s1, v10
	v_mul_f16_e32 v14, 0xbaee, v13
	v_mul_f16_e32 v13, 0.5, v13
	v_add_f16_e32 v24, v18, v15
	v_sub_f16_e32 v6, v21, v23
	v_add_f16_e32 v7, v21, v23
	v_fma_f16 v14, v12, 0.5, v14
	v_fma_f16 v12, v12, s0, v13
	v_add_f16_e32 v13, v4, v11
	v_add_f16_e32 v15, v5, v8
	v_fma_f16 v0, v1, s1, v0
	v_pack_b32_f16 v19, v19, v24
	v_fma_f16 v3, v7, -0.5, v3
	v_sub_f16_e32 v7, v114, v116
	v_pack_b32_f16 v13, v13, v15
	v_fma_f16 v15, v6, s1, v2
	v_fma_f16 v2, v6, s0, v2
	;; [unrolled: 1-line block ×3, first 2 shown]
	v_mul_f16_e32 v1, 0xbaee, v0
	v_mul_f16_e32 v0, -0.5, v0
	ds_write2_b32 v132, v16, v19 offset1:36
	v_fma_f16 v16, v7, s0, v3
	v_fma_f16 v3, v7, s1, v3
	v_fma_f16 v1, v6, -0.5, v1
	v_fma_f16 v0, v6, s0, v0
	v_sub_f16_e32 v4, v4, v11
	v_sub_f16_e32 v5, v5, v8
	v_add_f16_e32 v6, v2, v1
	v_add_f16_e32 v7, v3, v0
	v_pack_b32_f16 v6, v6, v7
	v_pack_b32_f16 v4, v4, v5
	v_add_f16_e32 v17, v15, v14
	v_add_f16_e32 v18, v16, v12
	ds_write2_b32 v133, v6, v4 offset0:72 offset1:108
	v_sub_f16_e32 v4, v15, v14
	v_sub_f16_e32 v1, v2, v1
	;; [unrolled: 1-line block ×4, first 2 shown]
	v_pack_b32_f16 v17, v17, v18
	v_pack_b32_f16 v2, v4, v2
	;; [unrolled: 1-line block ×3, first 2 shown]
	ds_write2_b32 v133, v13, v17 offset1:36
	ds_write2_b32 v133, v2, v0 offset0:144 offset1:180
	s_waitcnt lgkmcnt(0)
	s_barrier
	ds_read2_b32 v[0:1], v87 offset0:96 offset1:240
	ds_read2_b32 v[2:3], v105 offset0:64 offset1:208
	s_waitcnt lgkmcnt(1)
	v_lshrrev_b32_e32 v4, 16, v0
	v_mul_f16_sdwa v5, v32, v0 dst_sel:DWORD dst_unused:UNUSED_PAD src0_sel:WORD_1 src1_sel:DWORD
	v_fma_f16 v6, v32, v4, -v5
	v_mul_f16_sdwa v4, v32, v4 dst_sel:DWORD dst_unused:UNUSED_PAD src0_sel:WORD_1 src1_sel:DWORD
	v_fma_f16 v7, v32, v0, v4
	ds_read2_b32 v[4:5], v83 offset0:32 offset1:176
	s_waitcnt lgkmcnt(1)
	v_lshrrev_b32_e32 v0, 16, v2
	v_mul_f16_sdwa v8, v33, v2 dst_sel:DWORD dst_unused:UNUSED_PAD src0_sel:WORD_1 src1_sel:DWORD
	v_fma_f16 v8, v33, v0, -v8
	v_mul_f16_sdwa v0, v33, v0 dst_sel:DWORD dst_unused:UNUSED_PAD src0_sel:WORD_1 src1_sel:DWORD
	v_fma_f16 v9, v33, v2, v0
	s_waitcnt lgkmcnt(0)
	v_lshrrev_b32_e32 v0, 16, v4
	v_mul_f16_sdwa v2, v34, v4 dst_sel:DWORD dst_unused:UNUSED_PAD src0_sel:WORD_1 src1_sel:DWORD
	v_fma_f16 v10, v34, v0, -v2
	v_mul_f16_sdwa v0, v34, v0 dst_sel:DWORD dst_unused:UNUSED_PAD src0_sel:WORD_1 src1_sel:DWORD
	v_fma_f16 v11, v34, v4, v0
	v_lshrrev_b32_e32 v0, 16, v1
	v_mul_f16_sdwa v2, v53, v0 dst_sel:DWORD dst_unused:UNUSED_PAD src0_sel:WORD_1 src1_sel:DWORD
	v_fma_f16 v12, v53, v1, v2
	v_mul_f16_sdwa v1, v53, v1 dst_sel:DWORD dst_unused:UNUSED_PAD src0_sel:WORD_1 src1_sel:DWORD
	v_fma_f16 v13, v53, v0, -v1
	v_lshrrev_b32_e32 v0, 16, v3
	v_mul_f16_sdwa v1, v54, v0 dst_sel:DWORD dst_unused:UNUSED_PAD src0_sel:WORD_1 src1_sel:DWORD
	v_fma_f16 v14, v54, v3, v1
	v_mul_f16_sdwa v1, v54, v3 dst_sel:DWORD dst_unused:UNUSED_PAD src0_sel:WORD_1 src1_sel:DWORD
	v_fma_f16 v15, v54, v0, -v1
	ds_read2_b32 v[0:1], v106 offset1:144
	v_lshrrev_b32_e32 v2, 16, v5
	v_mul_f16_sdwa v3, v55, v2 dst_sel:DWORD dst_unused:UNUSED_PAD src0_sel:WORD_1 src1_sel:DWORD
	v_fma_f16 v16, v55, v5, v3
	v_mul_f16_sdwa v3, v55, v5 dst_sel:DWORD dst_unused:UNUSED_PAD src0_sel:WORD_1 src1_sel:DWORD
	v_fma_f16 v17, v55, v2, -v3
	s_waitcnt lgkmcnt(0)
	v_lshrrev_b32_e32 v4, 16, v0
	ds_read2_b32 v[2:3], v82 offset0:96 offset1:240
	v_mul_f16_sdwa v5, v47, v0 dst_sel:DWORD dst_unused:UNUSED_PAD src0_sel:WORD_1 src1_sel:DWORD
	v_fma_f16 v18, v47, v4, -v5
	v_mul_f16_sdwa v4, v47, v4 dst_sel:DWORD dst_unused:UNUSED_PAD src0_sel:WORD_1 src1_sel:DWORD
	v_fma_f16 v19, v47, v0, v4
	ds_read2_b32 v[4:5], v102 offset0:64 offset1:208
	s_waitcnt lgkmcnt(1)
	v_lshrrev_b32_e32 v0, 16, v2
	v_mul_f16_sdwa v20, v48, v2 dst_sel:DWORD dst_unused:UNUSED_PAD src0_sel:WORD_1 src1_sel:DWORD
	v_fma_f16 v20, v48, v0, -v20
	v_mul_f16_sdwa v0, v48, v0 dst_sel:DWORD dst_unused:UNUSED_PAD src0_sel:WORD_1 src1_sel:DWORD
	v_fma_f16 v21, v48, v2, v0
	s_waitcnt lgkmcnt(0)
	v_lshrrev_b32_e32 v0, 16, v4
	v_mul_f16_sdwa v2, v49, v4 dst_sel:DWORD dst_unused:UNUSED_PAD src0_sel:WORD_1 src1_sel:DWORD
	v_fma_f16 v22, v49, v0, -v2
	v_mul_f16_sdwa v0, v49, v0 dst_sel:DWORD dst_unused:UNUSED_PAD src0_sel:WORD_1 src1_sel:DWORD
	v_fma_f16 v23, v49, v4, v0
	v_lshrrev_b32_e32 v0, 16, v1
	v_mul_f16_sdwa v2, v50, v0 dst_sel:DWORD dst_unused:UNUSED_PAD src0_sel:WORD_1 src1_sel:DWORD
	v_fma_f16 v24, v50, v1, v2
	v_mul_f16_sdwa v1, v50, v1 dst_sel:DWORD dst_unused:UNUSED_PAD src0_sel:WORD_1 src1_sel:DWORD
	v_fma_f16 v25, v50, v0, -v1
	v_lshrrev_b32_e32 v0, 16, v3
	v_mul_f16_sdwa v1, v51, v0 dst_sel:DWORD dst_unused:UNUSED_PAD src0_sel:WORD_1 src1_sel:DWORD
	v_fma_f16 v26, v51, v3, v1
	v_mul_f16_sdwa v1, v51, v3 dst_sel:DWORD dst_unused:UNUSED_PAD src0_sel:WORD_1 src1_sel:DWORD
	v_fma_f16 v27, v51, v0, -v1
	ds_read2_b32 v[0:1], v85 offset0:32 offset1:176
	v_lshrrev_b32_e32 v2, 16, v5
	v_mul_f16_sdwa v3, v52, v2 dst_sel:DWORD dst_unused:UNUSED_PAD src0_sel:WORD_1 src1_sel:DWORD
	v_fma_f16 v28, v52, v5, v3
	v_mul_f16_sdwa v3, v52, v5 dst_sel:DWORD dst_unused:UNUSED_PAD src0_sel:WORD_1 src1_sel:DWORD
	v_fma_f16 v29, v52, v2, -v3
	s_waitcnt lgkmcnt(0)
	v_lshrrev_b32_e32 v4, 16, v0
	ds_read2_b32 v[2:3], v104 offset1:144
	v_mul_f16_sdwa v5, v38, v0 dst_sel:DWORD dst_unused:UNUSED_PAD src0_sel:WORD_1 src1_sel:DWORD
	v_fma_f16 v30, v38, v4, -v5
	v_mul_f16_sdwa v4, v38, v4 dst_sel:DWORD dst_unused:UNUSED_PAD src0_sel:WORD_1 src1_sel:DWORD
	v_fma_f16 v31, v38, v0, v4
	ds_read2_b32 v[4:5], v81 offset0:96 offset1:240
	s_waitcnt lgkmcnt(1)
	v_lshrrev_b32_e32 v0, 16, v2
	v_mul_f16_sdwa v32, v39, v2 dst_sel:DWORD dst_unused:UNUSED_PAD src0_sel:WORD_1 src1_sel:DWORD
	v_fma_f16 v32, v39, v0, -v32
	v_mul_f16_sdwa v0, v39, v0 dst_sel:DWORD dst_unused:UNUSED_PAD src0_sel:WORD_1 src1_sel:DWORD
	v_fma_f16 v33, v39, v2, v0
	s_waitcnt lgkmcnt(0)
	v_lshrrev_b32_e32 v0, 16, v4
	v_mul_f16_sdwa v2, v40, v4 dst_sel:DWORD dst_unused:UNUSED_PAD src0_sel:WORD_1 src1_sel:DWORD
	v_fma_f16 v34, v40, v0, -v2
	v_mul_f16_sdwa v0, v40, v0 dst_sel:DWORD dst_unused:UNUSED_PAD src0_sel:WORD_1 src1_sel:DWORD
	v_fma_f16 v38, v40, v4, v0
	v_lshrrev_b32_e32 v0, 16, v1
	v_mul_f16_sdwa v2, v35, v0 dst_sel:DWORD dst_unused:UNUSED_PAD src0_sel:WORD_1 src1_sel:DWORD
	v_fma_f16 v39, v35, v1, v2
	v_mul_f16_sdwa v1, v35, v1 dst_sel:DWORD dst_unused:UNUSED_PAD src0_sel:WORD_1 src1_sel:DWORD
	v_fma_f16 v35, v35, v0, -v1
	v_lshrrev_b32_e32 v0, 16, v3
	v_mul_f16_sdwa v1, v36, v0 dst_sel:DWORD dst_unused:UNUSED_PAD src0_sel:WORD_1 src1_sel:DWORD
	v_fma_f16 v40, v36, v3, v1
	v_mul_f16_sdwa v1, v36, v3 dst_sel:DWORD dst_unused:UNUSED_PAD src0_sel:WORD_1 src1_sel:DWORD
	v_fma_f16 v36, v36, v0, -v1
	ds_read2_b32 v[0:1], v100 offset1:144
	v_lshrrev_b32_e32 v2, 16, v5
	v_mul_f16_sdwa v3, v37, v2 dst_sel:DWORD dst_unused:UNUSED_PAD src0_sel:WORD_1 src1_sel:DWORD
	v_fma_f16 v47, v37, v5, v3
	v_mul_f16_sdwa v3, v37, v5 dst_sel:DWORD dst_unused:UNUSED_PAD src0_sel:WORD_1 src1_sel:DWORD
	v_fma_f16 v37, v37, v2, -v3
	s_waitcnt lgkmcnt(0)
	v_lshrrev_b32_e32 v3, 16, v0
	v_sub_f16_e32 v2, v0, v9
	v_sub_f16_e32 v4, v3, v8
	;; [unrolled: 1-line block ×4, first 2 shown]
	v_fma_f16 v3, v3, 2.0, -v4
	v_fma_f16 v7, v7, 2.0, -v5
	;; [unrolled: 1-line block ×4, first 2 shown]
	v_sub_f16_e32 v7, v0, v7
	v_sub_f16_e32 v6, v3, v6
	v_fma_f16 v0, v0, 2.0, -v7
	v_fma_f16 v3, v3, 2.0, -v6
	v_add_f16_e32 v8, v2, v8
	v_sub_f16_e32 v9, v4, v5
	v_pack_b32_f16 v0, v0, v3
	v_fma_f16 v2, v2, 2.0, -v8
	v_fma_f16 v3, v4, 2.0, -v9
	v_pack_b32_f16 v10, v2, v3
	ds_read2_b32 v[2:3], v88 offset0:32 offset1:176
	ds_read2_b32 v[4:5], v107 offset0:64 offset1:208
	s_waitcnt lgkmcnt(0)
	s_barrier
	ds_write2_b32 v100, v0, v10 offset1:216
	v_pack_b32_f16 v0, v7, v6
	v_pack_b32_f16 v6, v8, v9
	ds_write2_b32 v134, v0, v6 offset0:16 offset1:232
	v_lshrrev_b32_e32 v6, 16, v1
	v_sub_f16_e32 v0, v1, v14
	v_sub_f16_e32 v7, v6, v15
	;; [unrolled: 1-line block ×4, first 2 shown]
	v_fma_f16 v1, v1, 2.0, -v0
	v_fma_f16 v6, v6, 2.0, -v7
	;; [unrolled: 1-line block ×4, first 2 shown]
	v_sub_f16_e32 v10, v1, v10
	v_sub_f16_e32 v11, v6, v11
	v_fma_f16 v1, v1, 2.0, -v10
	v_fma_f16 v6, v6, 2.0, -v11
	v_pack_b32_f16 v1, v1, v6
	v_add_f16_e32 v6, v0, v9
	v_sub_f16_e32 v8, v7, v8
	v_fma_f16 v0, v0, 2.0, -v6
	v_fma_f16 v7, v7, 2.0, -v8
	v_pack_b32_f16 v0, v0, v7
	ds_write2_b32 v135, v1, v0 offset1:216
	v_pack_b32_f16 v0, v10, v11
	v_pack_b32_f16 v1, v6, v8
	ds_write2_b32 v136, v0, v1 offset0:16 offset1:232
	v_lshrrev_b32_e32 v1, 16, v2
	v_sub_f16_e32 v0, v2, v21
	v_sub_f16_e32 v6, v1, v20
	;; [unrolled: 1-line block ×4, first 2 shown]
	v_fma_f16 v1, v1, 2.0, -v6
	v_fma_f16 v9, v19, 2.0, -v7
	;; [unrolled: 1-line block ×4, first 2 shown]
	v_sub_f16_e32 v9, v2, v9
	v_sub_f16_e32 v10, v1, v10
	v_fma_f16 v2, v2, 2.0, -v9
	v_fma_f16 v1, v1, 2.0, -v10
	v_pack_b32_f16 v1, v2, v1
	v_add_f16_e32 v2, v0, v8
	v_sub_f16_e32 v7, v6, v7
	v_fma_f16 v0, v0, 2.0, -v2
	v_fma_f16 v6, v6, 2.0, -v7
	v_pack_b32_f16 v0, v0, v6
	ds_write2_b32 v137, v1, v0 offset0:8 offset1:224
	v_pack_b32_f16 v0, v9, v10
	v_pack_b32_f16 v1, v2, v7
	ds_write2_b32 v138, v0, v1 offset0:24 offset1:240
	v_sub_f16_e32 v0, v3, v26
	v_lshrrev_b32_e32 v1, 16, v3
	v_fma_f16 v2, v3, 2.0, -v0
	v_sub_f16_e32 v3, v1, v27
	v_sub_f16_e32 v6, v24, v28
	;; [unrolled: 1-line block ×3, first 2 shown]
	v_fma_f16 v1, v1, 2.0, -v3
	v_fma_f16 v8, v24, 2.0, -v6
	;; [unrolled: 1-line block ×3, first 2 shown]
	v_sub_f16_e32 v8, v2, v8
	v_sub_f16_e32 v9, v1, v9
	v_fma_f16 v2, v2, 2.0, -v8
	v_fma_f16 v1, v1, 2.0, -v9
	v_pack_b32_f16 v1, v2, v1
	v_add_f16_e32 v2, v0, v7
	v_sub_f16_e32 v6, v3, v6
	v_fma_f16 v0, v0, 2.0, -v2
	v_fma_f16 v3, v3, 2.0, -v6
	v_pack_b32_f16 v0, v0, v3
	ds_write2_b32 v139, v1, v0 offset1:216
	v_pack_b32_f16 v0, v8, v9
	v_pack_b32_f16 v1, v2, v6
	ds_write2_b32 v140, v0, v1 offset0:16 offset1:232
	v_lshrrev_b32_e32 v0, 16, v4
	v_sub_f16_e32 v1, v4, v33
	v_sub_f16_e32 v6, v0, v32
	;; [unrolled: 1-line block ×4, first 2 shown]
	v_fma_f16 v4, v4, 2.0, -v1
	v_fma_f16 v0, v0, 2.0, -v6
	;; [unrolled: 1-line block ×4, first 2 shown]
	v_sub_f16_e32 v9, v4, v9
	v_sub_f16_e32 v10, v0, v10
	v_lshrrev_b32_e32 v3, 16, v5
	v_fma_f16 v4, v4, 2.0, -v9
	v_fma_f16 v0, v0, 2.0, -v10
	v_sub_f16_e32 v2, v5, v40
	v_pack_b32_f16 v0, v4, v0
	v_add_f16_e32 v4, v1, v8
	v_sub_f16_e32 v7, v6, v7
	v_sub_f16_e32 v8, v3, v36
	;; [unrolled: 1-line block ×4, first 2 shown]
	v_fma_f16 v5, v5, 2.0, -v2
	v_fma_f16 v1, v1, 2.0, -v4
	;; [unrolled: 1-line block ×6, first 2 shown]
	v_sub_f16_e32 v13, v5, v13
	v_sub_f16_e32 v14, v3, v14
	v_add_f16_e32 v12, v2, v12
	v_sub_f16_e32 v11, v8, v11
	v_pack_b32_f16 v1, v1, v6
	v_fma_f16 v5, v5, 2.0, -v13
	v_fma_f16 v3, v3, 2.0, -v14
	;; [unrolled: 1-line block ×4, first 2 shown]
	ds_write2_b32 v141, v0, v1 offset1:216
	v_pack_b32_f16 v0, v9, v10
	v_pack_b32_f16 v1, v4, v7
	ds_write2_b32 v142, v0, v1 offset0:16 offset1:232
	v_pack_b32_f16 v0, v5, v3
	v_pack_b32_f16 v1, v2, v8
	ds_write2_b32 v143, v0, v1 offset0:32 offset1:248
	;; [unrolled: 3-line block ×3, first 2 shown]
	s_waitcnt lgkmcnt(0)
	s_barrier
	ds_read2_b32 v[0:1], v87 offset0:96 offset1:240
	ds_read2_b32 v[2:3], v105 offset0:64 offset1:208
	;; [unrolled: 1-line block ×3, first 2 shown]
	ds_read2_b32 v[6:7], v106 offset1:144
	ds_read2_b32 v[8:9], v82 offset0:96 offset1:240
	s_waitcnt lgkmcnt(4)
	v_lshrrev_b32_e32 v10, 16, v0
	v_mul_f16_sdwa v16, v44, v10 dst_sel:DWORD dst_unused:UNUSED_PAD src0_sel:WORD_1 src1_sel:DWORD
	s_waitcnt lgkmcnt(3)
	v_lshrrev_b32_e32 v11, 16, v2
	v_fma_f16 v16, v44, v0, v16
	v_mul_f16_sdwa v0, v44, v0 dst_sel:DWORD dst_unused:UNUSED_PAD src0_sel:WORD_1 src1_sel:DWORD
	v_fma_f16 v10, v44, v10, -v0
	v_mul_f16_sdwa v0, v45, v11 dst_sel:DWORD dst_unused:UNUSED_PAD src0_sel:WORD_1 src1_sel:DWORD
	v_fma_f16 v17, v45, v2, v0
	v_mul_f16_sdwa v0, v45, v2 dst_sel:DWORD dst_unused:UNUSED_PAD src0_sel:WORD_1 src1_sel:DWORD
	s_waitcnt lgkmcnt(2)
	v_lshrrev_b32_e32 v12, 16, v4
	v_fma_f16 v11, v45, v11, -v0
	v_mul_f16_sdwa v0, v46, v4 dst_sel:DWORD dst_unused:UNUSED_PAD src0_sel:WORD_1 src1_sel:DWORD
	v_lshrrev_b32_e32 v13, 16, v1
	v_fma_f16 v18, v46, v12, -v0
	v_mul_f16_sdwa v0, v46, v12 dst_sel:DWORD dst_unused:UNUSED_PAD src0_sel:WORD_1 src1_sel:DWORD
	v_fma_f16 v12, v46, v4, v0
	v_mul_f16_sdwa v0, v41, v13 dst_sel:DWORD dst_unused:UNUSED_PAD src0_sel:WORD_1 src1_sel:DWORD
	v_lshrrev_b32_e32 v14, 16, v3
	v_fma_f16 v19, v41, v1, v0
	v_mul_f16_sdwa v0, v41, v1 dst_sel:DWORD dst_unused:UNUSED_PAD src0_sel:WORD_1 src1_sel:DWORD
	v_fma_f16 v13, v41, v13, -v0
	v_mul_f16_sdwa v0, v42, v14 dst_sel:DWORD dst_unused:UNUSED_PAD src0_sel:WORD_1 src1_sel:DWORD
	s_waitcnt lgkmcnt(1)
	v_lshrrev_b32_e32 v2, 16, v6
	v_fma_f16 v20, v42, v3, v0
	ds_read2_b32 v[0:1], v102 offset0:64 offset1:208
	v_mul_f16_sdwa v22, v56, v2 dst_sel:DWORD dst_unused:UNUSED_PAD src0_sel:WORD_1 src1_sel:DWORD
	s_waitcnt lgkmcnt(1)
	v_lshrrev_b32_e32 v4, 16, v8
	v_fma_f16 v22, v56, v6, v22
	v_mul_f16_sdwa v6, v56, v6 dst_sel:DWORD dst_unused:UNUSED_PAD src0_sel:WORD_1 src1_sel:DWORD
	v_lshrrev_b32_e32 v15, 16, v5
	v_mul_f16_sdwa v3, v42, v3 dst_sel:DWORD dst_unused:UNUSED_PAD src0_sel:WORD_1 src1_sel:DWORD
	v_fma_f16 v6, v56, v2, -v6
	v_mul_f16_sdwa v2, v57, v4 dst_sel:DWORD dst_unused:UNUSED_PAD src0_sel:WORD_1 src1_sel:DWORD
	v_fma_f16 v14, v42, v14, -v3
	v_mul_f16_sdwa v3, v43, v15 dst_sel:DWORD dst_unused:UNUSED_PAD src0_sel:WORD_1 src1_sel:DWORD
	v_fma_f16 v23, v57, v8, v2
	v_mul_f16_sdwa v2, v57, v8 dst_sel:DWORD dst_unused:UNUSED_PAD src0_sel:WORD_1 src1_sel:DWORD
	v_fma_f16 v21, v43, v5, v3
	v_mul_f16_sdwa v3, v43, v5 dst_sel:DWORD dst_unused:UNUSED_PAD src0_sel:WORD_1 src1_sel:DWORD
	s_waitcnt lgkmcnt(0)
	v_lshrrev_b32_e32 v5, 16, v0
	v_fma_f16 v8, v57, v4, -v2
	v_mul_f16_sdwa v2, v58, v0 dst_sel:DWORD dst_unused:UNUSED_PAD src0_sel:WORD_1 src1_sel:DWORD
	v_fma_f16 v15, v43, v15, -v3
	v_lshrrev_b32_e32 v3, 16, v7
	v_fma_f16 v24, v58, v5, -v2
	v_mul_f16_sdwa v2, v58, v5 dst_sel:DWORD dst_unused:UNUSED_PAD src0_sel:WORD_1 src1_sel:DWORD
	v_fma_f16 v25, v58, v0, v2
	v_mul_f16_sdwa v2, v59, v3 dst_sel:DWORD dst_unused:UNUSED_PAD src0_sel:WORD_1 src1_sel:DWORD
	v_lshrrev_b32_e32 v0, 16, v9
	v_fma_f16 v27, v59, v7, v2
	v_mul_f16_sdwa v2, v59, v7 dst_sel:DWORD dst_unused:UNUSED_PAD src0_sel:WORD_1 src1_sel:DWORD
	v_fma_f16 v7, v59, v3, -v2
	v_mul_f16_sdwa v2, v60, v0 dst_sel:DWORD dst_unused:UNUSED_PAD src0_sel:WORD_1 src1_sel:DWORD
	v_fma_f16 v28, v60, v9, v2
	ds_read2_b32 v[2:3], v85 offset0:32 offset1:176
	v_lshrrev_b32_e32 v26, 16, v1
	v_mul_f16_sdwa v4, v60, v9 dst_sel:DWORD dst_unused:UNUSED_PAD src0_sel:WORD_1 src1_sel:DWORD
	v_fma_f16 v9, v60, v0, -v4
	v_mul_f16_sdwa v0, v61, v26 dst_sel:DWORD dst_unused:UNUSED_PAD src0_sel:WORD_1 src1_sel:DWORD
	v_fma_f16 v29, v61, v1, v0
	v_mul_f16_sdwa v0, v61, v1 dst_sel:DWORD dst_unused:UNUSED_PAD src0_sel:WORD_1 src1_sel:DWORD
	ds_read2_b32 v[4:5], v104 offset1:144
	v_fma_f16 v26, v61, v26, -v0
	s_waitcnt lgkmcnt(1)
	v_lshrrev_b32_e32 v0, 16, v2
	v_mul_f16_sdwa v1, v62, v2 dst_sel:DWORD dst_unused:UNUSED_PAD src0_sel:WORD_1 src1_sel:DWORD
	v_fma_f16 v31, v62, v0, -v1
	v_mul_f16_sdwa v0, v62, v0 dst_sel:DWORD dst_unused:UNUSED_PAD src0_sel:WORD_1 src1_sel:DWORD
	v_fma_f16 v32, v62, v2, v0
	ds_read2_b32 v[0:1], v81 offset0:96 offset1:240
	s_waitcnt lgkmcnt(1)
	v_lshrrev_b32_e32 v30, 16, v4
	v_mul_f16_sdwa v2, v63, v4 dst_sel:DWORD dst_unused:UNUSED_PAD src0_sel:WORD_1 src1_sel:DWORD
	v_fma_f16 v33, v63, v30, -v2
	v_mul_f16_sdwa v2, v63, v30 dst_sel:DWORD dst_unused:UNUSED_PAD src0_sel:WORD_1 src1_sel:DWORD
	v_fma_f16 v4, v63, v4, v2
	s_waitcnt lgkmcnt(0)
	v_lshrrev_b32_e32 v2, 16, v0
	v_mul_f16_sdwa v30, v64, v0 dst_sel:DWORD dst_unused:UNUSED_PAD src0_sel:WORD_1 src1_sel:DWORD
	v_fma_f16 v30, v64, v2, -v30
	v_mul_f16_sdwa v2, v64, v2 dst_sel:DWORD dst_unused:UNUSED_PAD src0_sel:WORD_1 src1_sel:DWORD
	v_fma_f16 v34, v64, v0, v2
	v_lshrrev_b32_e32 v0, 16, v3
	v_mul_f16_sdwa v2, v65, v0 dst_sel:DWORD dst_unused:UNUSED_PAD src0_sel:WORD_1 src1_sel:DWORD
	v_fma_f16 v35, v65, v3, v2
	v_mul_f16_sdwa v2, v65, v3 dst_sel:DWORD dst_unused:UNUSED_PAD src0_sel:WORD_1 src1_sel:DWORD
	v_fma_f16 v36, v65, v0, -v2
	v_lshrrev_b32_e32 v0, 16, v5
	v_mul_f16_sdwa v2, v66, v0 dst_sel:DWORD dst_unused:UNUSED_PAD src0_sel:WORD_1 src1_sel:DWORD
	v_fma_f16 v37, v66, v5, v2
	v_mul_f16_sdwa v2, v66, v5 dst_sel:DWORD dst_unused:UNUSED_PAD src0_sel:WORD_1 src1_sel:DWORD
	v_fma_f16 v5, v66, v0, -v2
	ds_read2_b32 v[2:3], v100 offset1:144
	v_lshrrev_b32_e32 v0, 16, v1
	v_mul_f16_sdwa v38, v67, v0 dst_sel:DWORD dst_unused:UNUSED_PAD src0_sel:WORD_1 src1_sel:DWORD
	v_fma_f16 v38, v67, v1, v38
	v_mul_f16_sdwa v1, v67, v1 dst_sel:DWORD dst_unused:UNUSED_PAD src0_sel:WORD_1 src1_sel:DWORD
	v_fma_f16 v39, v67, v0, -v1
	s_waitcnt lgkmcnt(0)
	v_sub_f16_e32 v0, v2, v17
	v_sub_f16_e32 v17, v3, v20
	v_lshrrev_b32_e32 v1, 16, v2
	v_lshrrev_b32_e32 v20, 16, v3
	v_fma_f16 v40, v3, 2.0, -v17
	v_sub_f16_e32 v3, v1, v11
	v_sub_f16_e32 v11, v16, v12
	;; [unrolled: 1-line block ×3, first 2 shown]
	v_fma_f16 v2, v2, 2.0, -v0
	v_fma_f16 v1, v1, 2.0, -v3
	;; [unrolled: 1-line block ×4, first 2 shown]
	v_sub_f16_e32 v16, v2, v16
	v_sub_f16_e32 v10, v1, v10
	v_fma_f16 v2, v2, 2.0, -v16
	v_fma_f16 v1, v1, 2.0, -v10
	v_add_f16_e32 v12, v0, v12
	v_sub_f16_e32 v11, v3, v11
	v_pack_b32_f16 v18, v2, v1
	v_fma_f16 v0, v0, 2.0, -v12
	v_fma_f16 v1, v3, 2.0, -v11
	v_pack_b32_f16 v10, v16, v10
	v_pack_b32_f16 v41, v0, v1
	ds_read2_b32 v[0:1], v88 offset0:32 offset1:176
	ds_read2_b32 v[2:3], v107 offset0:64 offset1:208
	ds_write_b32 v100, v10 offset:6912
	v_pack_b32_f16 v10, v12, v11
	ds_write_b32 v100, v10 offset:10368
	v_sub_f16_e32 v10, v20, v14
	v_sub_f16_e32 v12, v19, v21
	;; [unrolled: 1-line block ×3, first 2 shown]
	v_fma_f16 v11, v20, 2.0, -v10
	v_fma_f16 v15, v19, 2.0, -v12
	;; [unrolled: 1-line block ×3, first 2 shown]
	v_sub_f16_e32 v15, v40, v15
	v_sub_f16_e32 v13, v11, v13
	v_fma_f16 v16, v40, 2.0, -v15
	v_fma_f16 v11, v11, 2.0, -v13
	v_pack_b32_f16 v11, v16, v11
	v_add_f16_e32 v14, v17, v14
	v_sub_f16_e32 v12, v10, v12
	ds_write_b32 v100, v41 offset:3456
	s_waitcnt lgkmcnt(4)
	v_lshrrev_b32_e32 v16, 16, v0
	ds_write2_b32 v100, v18, v11 offset1:144
	v_lshrrev_b32_e32 v11, 16, v1
	v_fma_f16 v17, v17, 2.0, -v14
	v_fma_f16 v10, v10, 2.0, -v12
	v_sub_f16_e32 v18, v0, v23
	v_sub_f16_e32 v19, v1, v28
	v_pack_b32_f16 v10, v17, v10
	v_sub_f16_e32 v8, v16, v8
	v_sub_f16_e32 v17, v22, v25
	;; [unrolled: 1-line block ×6, first 2 shown]
	v_fma_f16 v0, v0, 2.0, -v18
	v_fma_f16 v1, v1, 2.0, -v19
	;; [unrolled: 1-line block ×8, first 2 shown]
	s_waitcnt lgkmcnt(4)
	v_lshrrev_b32_e32 v20, 16, v2
	v_lshrrev_b32_e32 v23, 16, v3
	v_sub_f16_e32 v22, v0, v22
	v_sub_f16_e32 v6, v16, v6
	v_add_f16_e32 v24, v18, v24
	v_sub_f16_e32 v17, v8, v17
	v_sub_f16_e32 v27, v1, v27
	;; [unrolled: 1-line block ×5, first 2 shown]
	v_fma_f16 v0, v0, 2.0, -v22
	v_fma_f16 v16, v16, 2.0, -v6
	;; [unrolled: 1-line block ×6, first 2 shown]
	v_sub_f16_e32 v28, v20, v33
	v_sub_f16_e32 v29, v32, v34
	;; [unrolled: 1-line block ×6, first 2 shown]
	v_fma_f16 v2, v2, 2.0, -v4
	v_fma_f16 v3, v3, 2.0, -v21
	;; [unrolled: 1-line block ×8, first 2 shown]
	v_pack_b32_f16 v13, v15, v13
	v_pack_b32_f16 v12, v14, v12
	;; [unrolled: 1-line block ×5, first 2 shown]
	v_add_f16_e32 v26, v19, v26
	v_sub_f16_e32 v25, v9, v25
	v_sub_f16_e32 v32, v2, v32
	;; [unrolled: 1-line block ×5, first 2 shown]
	ds_write_b32 v100, v13 offset:7488
	ds_write_b32 v100, v12 offset:10944
	ds_write2_b32 v145, v10, v8 offset0:48 offset1:192
	v_pack_b32_f16 v6, v22, v6
	ds_write2_b32 v88, v0, v1 offset0:32 offset1:176
	v_pack_b32_f16 v1, v27, v7
	v_fma_f16 v2, v2, 2.0, -v32
	v_fma_f16 v20, v20, 2.0, -v31
	v_add_f16_e32 v30, v4, v30
	v_sub_f16_e32 v29, v28, v29
	v_fma_f16 v3, v3, 2.0, -v35
	v_fma_f16 v23, v23, 2.0, -v36
	v_add_f16_e32 v34, v21, v34
	v_sub_f16_e32 v33, v5, v33
	v_pack_b32_f16 v8, v24, v17
	ds_write2_b32 v82, v6, v1 offset0:96 offset1:240
	v_pack_b32_f16 v1, v26, v25
	v_fma_f16 v19, v19, 2.0, -v26
	v_fma_f16 v9, v9, 2.0, -v25
	;; [unrolled: 1-line block ×6, first 2 shown]
	ds_write2_b32 v102, v8, v1 offset0:64 offset1:208
	v_pack_b32_f16 v1, v2, v20
	v_pack_b32_f16 v3, v3, v23
	;; [unrolled: 1-line block ×4, first 2 shown]
	ds_write2_b32 v107, v1, v3 offset0:64 offset1:208
	v_pack_b32_f16 v1, v21, v5
	ds_write2_b32 v108, v0, v2 offset0:16 offset1:160
	v_pack_b32_f16 v0, v32, v31
	ds_write_b32 v100, v1 offset:6336
	v_pack_b32_f16 v1, v35, v36
	v_pack_b32_f16 v2, v30, v29
	ds_write2_b32 v104, v0, v1 offset1:144
	v_pack_b32_f16 v0, v34, v33
	ds_write2_b32 v81, v2, v0 offset0:96 offset1:240
	s_waitcnt lgkmcnt(0)
	s_barrier
	ds_read2_b32 v[0:1], v100 offset1:144
	v_mad_u64_u32 v[4:5], s[0:1], s10, v68, 0
	v_mov_b32_e32 v12, 0x7c00
	s_movk_i32 s10, 0x40f
	s_waitcnt lgkmcnt(0)
	v_lshrrev_b32_e32 v7, 16, v0
	v_mul_f16_sdwa v2, v99, v7 dst_sel:DWORD dst_unused:UNUSED_PAD src0_sel:WORD_1 src1_sel:DWORD
	v_fma_f16 v2, v99, v0, v2
	v_cvt_f32_f16_e32 v2, v2
	v_mad_u64_u32 v[5:6], s[0:1], s11, v68, v[5:6]
	v_mul_f16_sdwa v0, v99, v0 dst_sel:DWORD dst_unused:UNUSED_PAD src0_sel:WORD_1 src1_sel:DWORD
	v_cvt_f64_f32_e32 v[2:3], v2
	v_fma_f16 v0, v99, v7, -v0
	v_cvt_f32_f16_e32 v0, v0
	s_mov_b32 s11, 0x8000
	v_mul_f64 v[2:3], v[2:3], s[2:3]
	v_lshlrev_b64 v[4:5], 2, v[4:5]
	v_and_or_b32 v2, v3, s6, v2
	v_cmp_ne_u32_e32 vcc, 0, v2
	v_cndmask_b32_e64 v2, 0, 1, vcc
	v_lshrrev_b32_e32 v6, 8, v3
	v_bfe_u32 v8, v3, 20, 11
	v_and_or_b32 v2, v6, s7, v2
	v_sub_u32_e32 v9, 0x3f1, v8
	v_or_b32_e32 v6, 0x1000, v2
	v_med3_i32 v9, v9, 0, 13
	v_lshrrev_b32_e32 v10, v9, v6
	v_lshlrev_b32_e32 v9, v9, v10
	v_cmp_ne_u32_e32 vcc, v9, v6
	v_cndmask_b32_e64 v6, 0, 1, vcc
	v_add_u32_e32 v8, 0xfffffc10, v8
	v_or_b32_e32 v6, v10, v6
	v_lshl_or_b32 v9, v8, 12, v2
	v_cmp_gt_i32_e32 vcc, 1, v8
	v_cndmask_b32_e32 v6, v9, v6, vcc
	v_and_b32_e32 v9, 7, v6
	v_cmp_lt_i32_e32 vcc, 5, v9
	v_cmp_eq_u32_e64 s[0:1], 3, v9
	v_lshrrev_b32_e32 v6, 2, v6
	s_or_b64 vcc, s[0:1], vcc
	v_addc_co_u32_e32 v9, vcc, 0, v6, vcc
	v_cvt_f64_f32_e32 v[6:7], v0
	v_cmp_gt_i32_e32 vcc, 31, v8
	v_cndmask_b32_e32 v0, v12, v9, vcc
	v_cmp_ne_u32_e32 vcc, 0, v2
	v_mul_f64 v[6:7], v[6:7], s[2:3]
	v_cndmask_b32_e64 v2, 0, 1, vcc
	v_lshl_or_b32 v2, v2, 9, v12
	v_cmp_eq_u32_e32 vcc, s10, v8
	v_cndmask_b32_e32 v0, v0, v2, vcc
	v_lshrrev_b32_e32 v2, 16, v3
	v_and_or_b32 v10, v2, s11, v0
	v_and_b32_e32 v10, 0xffff, v10
	v_and_or_b32 v0, v7, s6, v6
	v_cmp_ne_u32_e32 vcc, 0, v0
	v_cndmask_b32_e64 v0, 0, 1, vcc
	v_lshrrev_b32_e32 v2, 8, v7
	v_bfe_u32 v3, v7, 20, 11
	v_and_or_b32 v0, v2, s7, v0
	v_sub_u32_e32 v6, 0x3f1, v3
	v_or_b32_e32 v2, 0x1000, v0
	v_med3_i32 v6, v6, 0, 13
	v_lshrrev_b32_e32 v8, v6, v2
	v_lshlrev_b32_e32 v6, v6, v8
	v_cmp_ne_u32_e32 vcc, v6, v2
	v_cndmask_b32_e64 v2, 0, 1, vcc
	v_add_u32_e32 v3, 0xfffffc10, v3
	v_or_b32_e32 v2, v8, v2
	v_lshl_or_b32 v6, v3, 12, v0
	v_cmp_gt_i32_e32 vcc, 1, v3
	v_cndmask_b32_e32 v2, v6, v2, vcc
	v_and_b32_e32 v6, 7, v2
	v_cmp_lt_i32_e32 vcc, 5, v6
	v_cmp_eq_u32_e64 s[0:1], 3, v6
	v_lshrrev_b32_e32 v2, 2, v2
	s_or_b64 vcc, s[0:1], vcc
	v_addc_co_u32_e32 v2, vcc, 0, v2, vcc
	v_cmp_gt_i32_e32 vcc, 31, v3
	v_cndmask_b32_e32 v2, v12, v2, vcc
	v_cmp_ne_u32_e32 vcc, 0, v0
	v_cndmask_b32_e64 v0, 0, 1, vcc
	v_lshl_or_b32 v0, v0, 9, v12
	v_cmp_eq_u32_e32 vcc, s10, v3
	v_mad_u64_u32 v[8:9], s[0:1], s8, v97, 0
	v_cndmask_b32_e32 v11, v2, v0, vcc
	ds_read2_b32 v[2:3], v107 offset0:64 offset1:208
	v_mov_b32_e32 v0, v9
	v_lshrrev_b32_e32 v13, 16, v7
	v_mad_u64_u32 v[6:7], s[0:1], s9, v97, v[0:1]
	s_waitcnt lgkmcnt(0)
	v_lshrrev_b32_e32 v0, 16, v2
	v_mul_f16_sdwa v7, v103, v0 dst_sel:DWORD dst_unused:UNUSED_PAD src0_sel:WORD_1 src1_sel:DWORD
	v_fma_f16 v7, v103, v2, v7
	v_cvt_f32_f16_e32 v7, v7
	v_mov_b32_e32 v9, v6
	v_and_or_b32 v11, v13, s11, v11
	v_lshl_or_b32 v10, v11, 16, v10
	v_cvt_f64_f32_e32 v[6:7], v7
	v_mov_b32_e32 v11, s5
	v_add_co_u32_e32 v20, vcc, s4, v4
	v_mul_f64 v[6:7], v[6:7], s[2:3]
	v_addc_co_u32_e32 v21, vcc, v11, v5, vcc
	v_lshlrev_b64 v[4:5], 2, v[8:9]
	v_mul_f16_sdwa v2, v103, v2 dst_sel:DWORD dst_unused:UNUSED_PAD src0_sel:WORD_1 src1_sel:DWORD
	v_add_co_u32_e32 v8, vcc, v20, v4
	v_addc_co_u32_e32 v9, vcc, v21, v5, vcc
	v_and_or_b32 v4, v7, s6, v6
	v_cmp_ne_u32_e32 vcc, 0, v4
	v_cndmask_b32_e64 v4, 0, 1, vcc
	v_lshrrev_b32_e32 v5, 8, v7
	global_store_dword v[8:9], v10, off
	v_and_or_b32 v10, v5, s7, v4
	v_bfe_u32 v5, v7, 20, 11
	v_sub_u32_e32 v6, 0x3f1, v5
	v_or_b32_e32 v4, 0x1000, v10
	v_med3_i32 v6, v6, 0, 13
	v_lshrrev_b32_e32 v11, v6, v4
	v_lshlrev_b32_e32 v6, v6, v11
	v_cmp_ne_u32_e32 vcc, v6, v4
	v_cndmask_b32_e64 v4, 0, 1, vcc
	v_fma_f16 v0, v103, v0, -v2
	v_or_b32_e32 v4, v11, v4
	v_add_u32_e32 v11, 0xfffffc10, v5
	v_cvt_f32_f16_e32 v0, v0
	v_lshl_or_b32 v5, v11, 12, v10
	v_cmp_gt_i32_e32 vcc, 1, v11
	v_cndmask_b32_e32 v4, v5, v4, vcc
	v_and_b32_e32 v5, 7, v4
	v_cmp_lt_i32_e32 vcc, 5, v5
	v_cmp_eq_u32_e64 s[0:1], 3, v5
	v_lshrrev_b32_e32 v2, 2, v4
	v_cvt_f64_f32_e32 v[4:5], v0
	s_or_b64 vcc, s[0:1], vcc
	v_addc_co_u32_e32 v0, vcc, 0, v2, vcc
	v_mul_f64 v[5:6], v[4:5], s[2:3]
	v_cmp_gt_i32_e32 vcc, 31, v11
	v_cndmask_b32_e32 v0, v12, v0, vcc
	v_cmp_ne_u32_e32 vcc, 0, v10
	v_cndmask_b32_e64 v2, 0, 1, vcc
	v_lshl_or_b32 v2, v2, 9, v12
	v_cmp_eq_u32_e32 vcc, s10, v11
	v_cndmask_b32_e32 v0, v0, v2, vcc
	v_lshrrev_b32_e32 v2, 16, v7
	v_and_or_b32 v0, v2, s11, v0
	v_and_or_b32 v2, v6, s6, v5
	v_cmp_ne_u32_e32 vcc, 0, v2
	v_cndmask_b32_e64 v2, 0, 1, vcc
	v_lshrrev_b32_e32 v4, 8, v6
	v_bfe_u32 v5, v6, 20, 11
	v_and_or_b32 v2, v4, s7, v2
	v_sub_u32_e32 v7, 0x3f1, v5
	v_or_b32_e32 v4, 0x1000, v2
	v_med3_i32 v7, v7, 0, 13
	v_lshrrev_b32_e32 v10, v7, v4
	v_lshlrev_b32_e32 v7, v7, v10
	v_cmp_ne_u32_e32 vcc, v7, v4
	v_cndmask_b32_e64 v4, 0, 1, vcc
	v_add_u32_e32 v7, 0xfffffc10, v5
	v_or_b32_e32 v4, v10, v4
	v_lshl_or_b32 v5, v7, 12, v2
	v_cmp_gt_i32_e32 vcc, 1, v7
	v_cndmask_b32_e32 v4, v5, v4, vcc
	v_and_b32_e32 v5, 7, v4
	v_cmp_lt_i32_e32 vcc, 5, v5
	v_cmp_eq_u32_e64 s[0:1], 3, v5
	v_lshrrev_b32_e32 v4, 2, v4
	s_or_b64 vcc, s[0:1], vcc
	v_addc_co_u32_e32 v4, vcc, 0, v4, vcc
	v_cmp_gt_i32_e32 vcc, 31, v7
	v_cndmask_b32_e32 v10, v12, v4, vcc
	ds_read2_b32 v[4:5], v106 offset1:144
	v_cmp_ne_u32_e32 vcc, 0, v2
	v_cndmask_b32_e64 v2, 0, 1, vcc
	v_lshl_or_b32 v2, v2, 9, v12
	v_cmp_eq_u32_e32 vcc, s10, v7
	v_cndmask_b32_e32 v2, v10, v2, vcc
	s_waitcnt lgkmcnt(0)
	v_lshrrev_b32_e32 v10, 16, v4
	v_mul_f16_sdwa v7, v101, v10 dst_sel:DWORD dst_unused:UNUSED_PAD src0_sel:WORD_1 src1_sel:DWORD
	v_fma_f16 v7, v101, v4, v7
	v_cvt_f32_f16_e32 v7, v7
	v_lshrrev_b32_e32 v6, 16, v6
	v_and_or_b32 v2, v6, s11, v2
	s_mul_i32 s0, s9, 0x900
	v_cvt_f64_f32_e32 v[6:7], v7
	s_mul_hi_u32 s4, s8, 0x900
	v_and_b32_e32 v0, 0xffff, v0
	s_add_i32 s4, s4, s0
	v_mul_f64 v[6:7], v[6:7], s[2:3]
	s_mul_i32 s5, s8, 0x900
	v_lshl_or_b32 v0, v2, 16, v0
	v_mov_b32_e32 v2, s4
	v_add_co_u32_e32 v8, vcc, s5, v8
	v_addc_co_u32_e32 v9, vcc, v9, v2, vcc
	global_store_dword v[8:9], v0, off
	v_and_or_b32 v0, v7, s6, v6
	v_cmp_ne_u32_e32 vcc, 0, v0
	v_cndmask_b32_e64 v0, 0, 1, vcc
	v_lshrrev_b32_e32 v2, 8, v7
	v_bfe_u32 v6, v7, 20, 11
	v_and_or_b32 v0, v2, s7, v0
	v_sub_u32_e32 v11, 0x3f1, v6
	v_or_b32_e32 v2, 0x1000, v0
	v_med3_i32 v11, v11, 0, 13
	v_lshrrev_b32_e32 v13, v11, v2
	v_lshlrev_b32_e32 v11, v11, v13
	v_mul_f16_sdwa v4, v101, v4 dst_sel:DWORD dst_unused:UNUSED_PAD src0_sel:WORD_1 src1_sel:DWORD
	v_cmp_ne_u32_e32 vcc, v11, v2
	v_fma_f16 v4, v101, v10, -v4
	v_cndmask_b32_e64 v2, 0, 1, vcc
	v_add_u32_e32 v6, 0xfffffc10, v6
	v_cvt_f32_f16_e32 v4, v4
	v_or_b32_e32 v2, v13, v2
	v_lshl_or_b32 v11, v6, 12, v0
	v_cmp_gt_i32_e32 vcc, 1, v6
	v_cndmask_b32_e32 v2, v11, v2, vcc
	v_and_b32_e32 v11, 7, v2
	v_cmp_lt_i32_e32 vcc, 5, v11
	v_cmp_eq_u32_e64 s[0:1], 3, v11
	v_cvt_f64_f32_e32 v[10:11], v4
	v_lshrrev_b32_e32 v2, 2, v2
	s_or_b64 vcc, s[0:1], vcc
	v_addc_co_u32_e32 v2, vcc, 0, v2, vcc
	v_mul_f64 v[10:11], v[10:11], s[2:3]
	v_cmp_gt_i32_e32 vcc, 31, v6
	v_cndmask_b32_e32 v2, v12, v2, vcc
	v_cmp_ne_u32_e32 vcc, 0, v0
	v_cndmask_b32_e64 v0, 0, 1, vcc
	v_lshl_or_b32 v0, v0, 9, v12
	v_cmp_eq_u32_e32 vcc, s10, v6
	v_cndmask_b32_e32 v0, v2, v0, vcc
	v_lshrrev_b32_e32 v2, 16, v7
	v_and_or_b32 v0, v2, s11, v0
	v_and_or_b32 v2, v11, s6, v10
	v_cmp_ne_u32_e32 vcc, 0, v2
	v_cndmask_b32_e64 v2, 0, 1, vcc
	v_lshrrev_b32_e32 v4, 8, v11
	v_bfe_u32 v6, v11, 20, 11
	v_and_or_b32 v2, v4, s7, v2
	v_sub_u32_e32 v7, 0x3f1, v6
	v_or_b32_e32 v4, 0x1000, v2
	v_med3_i32 v7, v7, 0, 13
	v_lshrrev_b32_e32 v10, v7, v4
	v_lshlrev_b32_e32 v7, v7, v10
	v_cmp_ne_u32_e32 vcc, v7, v4
	v_cndmask_b32_e64 v4, 0, 1, vcc
	v_or_b32_e32 v4, v10, v4
	v_add_u32_e32 v10, 0xfffffc10, v6
	v_lshl_or_b32 v6, v10, 12, v2
	v_cmp_gt_i32_e32 vcc, 1, v10
	v_cndmask_b32_e32 v4, v6, v4, vcc
	v_and_b32_e32 v6, 7, v4
	v_cmp_lt_i32_e32 vcc, 5, v6
	v_cmp_eq_u32_e64 s[0:1], 3, v6
	ds_read2_b32 v[6:7], v105 offset0:64 offset1:208
	v_lshrrev_b32_e32 v4, 2, v4
	s_or_b64 vcc, s[0:1], vcc
	v_addc_co_u32_e32 v4, vcc, 0, v4, vcc
	s_waitcnt lgkmcnt(0)
	v_lshrrev_b32_e32 v15, 16, v6
	v_mul_f16_sdwa v13, v98, v15 dst_sel:DWORD dst_unused:UNUSED_PAD src0_sel:WORD_1 src1_sel:DWORD
	v_fma_f16 v13, v98, v6, v13
	v_cvt_f32_f16_e32 v13, v13
	v_cmp_gt_i32_e32 vcc, 31, v10
	v_cndmask_b32_e32 v4, v12, v4, vcc
	v_cmp_ne_u32_e32 vcc, 0, v2
	v_cvt_f64_f32_e32 v[13:14], v13
	v_cndmask_b32_e64 v2, 0, 1, vcc
	v_lshl_or_b32 v2, v2, 9, v12
	v_cmp_eq_u32_e32 vcc, s10, v10
	v_cndmask_b32_e32 v2, v4, v2, vcc
	v_lshrrev_b32_e32 v4, 16, v11
	v_mul_f64 v[10:11], v[13:14], s[2:3]
	v_and_or_b32 v2, v4, s11, v2
	v_and_b32_e32 v0, 0xffff, v0
	v_lshl_or_b32 v0, v2, 16, v0
	v_mov_b32_e32 v2, s4
	v_add_co_u32_e32 v13, vcc, s5, v8
	v_addc_co_u32_e32 v14, vcc, v9, v2, vcc
	global_store_dword v[13:14], v0, off
	v_and_or_b32 v0, v11, s6, v10
	v_cmp_ne_u32_e32 vcc, 0, v0
	v_cndmask_b32_e64 v0, 0, 1, vcc
	v_lshrrev_b32_e32 v2, 8, v11
	v_bfe_u32 v4, v11, 20, 11
	v_and_or_b32 v0, v2, s7, v0
	v_sub_u32_e32 v8, 0x3f1, v4
	v_or_b32_e32 v2, 0x1000, v0
	v_med3_i32 v8, v8, 0, 13
	v_lshrrev_b32_e32 v9, v8, v2
	v_lshlrev_b32_e32 v8, v8, v9
	v_mul_f16_sdwa v6, v98, v6 dst_sel:DWORD dst_unused:UNUSED_PAD src0_sel:WORD_1 src1_sel:DWORD
	v_cmp_ne_u32_e32 vcc, v8, v2
	v_fma_f16 v6, v98, v15, -v6
	v_cndmask_b32_e64 v2, 0, 1, vcc
	v_add_u32_e32 v4, 0xfffffc10, v4
	v_cvt_f32_f16_e32 v6, v6
	v_or_b32_e32 v2, v9, v2
	v_lshl_or_b32 v8, v4, 12, v0
	v_cmp_gt_i32_e32 vcc, 1, v4
	v_cndmask_b32_e32 v2, v8, v2, vcc
	v_and_b32_e32 v8, 7, v2
	v_cmp_lt_i32_e32 vcc, 5, v8
	v_cmp_eq_u32_e64 s[0:1], 3, v8
	v_cvt_f64_f32_e32 v[8:9], v6
	v_lshrrev_b32_e32 v2, 2, v2
	s_or_b64 vcc, s[0:1], vcc
	v_addc_co_u32_e32 v2, vcc, 0, v2, vcc
	v_mul_f64 v[9:10], v[8:9], s[2:3]
	v_cmp_gt_i32_e32 vcc, 31, v4
	v_cndmask_b32_e32 v2, v12, v2, vcc
	v_cmp_ne_u32_e32 vcc, 0, v0
	v_cndmask_b32_e64 v0, 0, 1, vcc
	v_lshl_or_b32 v0, v0, 9, v12
	v_cmp_eq_u32_e32 vcc, s10, v4
	v_cndmask_b32_e32 v0, v2, v0, vcc
	v_lshrrev_b32_e32 v2, 16, v11
	v_and_or_b32 v0, v2, s11, v0
	v_and_or_b32 v2, v10, s6, v9
	v_cmp_ne_u32_e32 vcc, 0, v2
	v_cndmask_b32_e64 v2, 0, 1, vcc
	v_lshrrev_b32_e32 v4, 8, v10
	v_bfe_u32 v6, v10, 20, 11
	v_and_or_b32 v2, v4, s7, v2
	v_sub_u32_e32 v8, 0x3f1, v6
	v_or_b32_e32 v4, 0x1000, v2
	v_med3_i32 v8, v8, 0, 13
	v_lshrrev_b32_e32 v9, v8, v4
	v_lshlrev_b32_e32 v8, v8, v9
	v_cmp_ne_u32_e32 vcc, v8, v4
	v_cndmask_b32_e64 v4, 0, 1, vcc
	v_add_u32_e32 v6, 0xfffffc10, v6
	v_or_b32_e32 v4, v9, v4
	v_lshl_or_b32 v8, v6, 12, v2
	v_cmp_gt_i32_e32 vcc, 1, v6
	v_cndmask_b32_e32 v4, v8, v4, vcc
	v_and_b32_e32 v8, 7, v4
	v_cmp_lt_i32_e32 vcc, 5, v8
	v_cmp_eq_u32_e64 s[0:1], 3, v8
	ds_read2_b32 v[8:9], v104 offset1:144
	v_lshrrev_b32_e32 v4, 2, v4
	s_or_b64 vcc, s[0:1], vcc
	v_addc_co_u32_e32 v4, vcc, 0, v4, vcc
	s_waitcnt lgkmcnt(0)
	v_lshrrev_b32_e32 v17, 16, v8
	v_mul_f16_sdwa v11, v95, v17 dst_sel:DWORD dst_unused:UNUSED_PAD src0_sel:WORD_1 src1_sel:DWORD
	v_fma_f16 v11, v95, v8, v11
	v_cvt_f32_f16_e32 v11, v11
	v_cmp_gt_i32_e32 vcc, 31, v6
	v_cndmask_b32_e32 v4, v12, v4, vcc
	v_cmp_ne_u32_e32 vcc, 0, v2
	v_cvt_f64_f32_e32 v[15:16], v11
	v_cndmask_b32_e64 v2, 0, 1, vcc
	v_lshl_or_b32 v2, v2, 9, v12
	v_cmp_eq_u32_e32 vcc, s10, v6
	v_cndmask_b32_e32 v2, v4, v2, vcc
	v_lshrrev_b32_e32 v4, 16, v10
	v_mul_f64 v[10:11], v[15:16], s[2:3]
	v_and_or_b32 v2, v4, s11, v2
	v_and_b32_e32 v0, 0xffff, v0
	v_lshl_or_b32 v0, v2, 16, v0
	v_mov_b32_e32 v2, s4
	v_add_co_u32_e32 v13, vcc, s5, v13
	v_addc_co_u32_e32 v14, vcc, v14, v2, vcc
	global_store_dword v[13:14], v0, off
	v_and_or_b32 v0, v11, s6, v10
	v_cmp_ne_u32_e32 vcc, 0, v0
	v_cndmask_b32_e64 v0, 0, 1, vcc
	v_lshrrev_b32_e32 v2, 8, v11
	v_bfe_u32 v4, v11, 20, 11
	v_mul_f16_sdwa v8, v95, v8 dst_sel:DWORD dst_unused:UNUSED_PAD src0_sel:WORD_1 src1_sel:DWORD
	v_and_or_b32 v0, v2, s7, v0
	v_sub_u32_e32 v6, 0x3f1, v4
	v_fma_f16 v8, v95, v17, -v8
	v_or_b32_e32 v2, 0x1000, v0
	v_med3_i32 v6, v6, 0, 13
	v_cvt_f32_f16_e32 v8, v8
	v_lshrrev_b32_e32 v10, v6, v2
	v_lshlrev_b32_e32 v6, v6, v10
	v_cmp_ne_u32_e32 vcc, v6, v2
	v_cndmask_b32_e64 v2, 0, 1, vcc
	v_add_u32_e32 v4, 0xfffffc10, v4
	v_cvt_f64_f32_e32 v[15:16], v8
	v_or_b32_e32 v2, v10, v2
	v_lshl_or_b32 v6, v4, 12, v0
	v_cmp_gt_i32_e32 vcc, 1, v4
	v_cndmask_b32_e32 v2, v6, v2, vcc
	v_and_b32_e32 v6, 7, v2
	v_cmp_lt_i32_e32 vcc, 5, v6
	v_cmp_eq_u32_e64 s[0:1], 3, v6
	v_mul_f64 v[15:16], v[15:16], s[2:3]
	v_lshrrev_b32_e32 v2, 2, v2
	s_or_b64 vcc, s[0:1], vcc
	v_addc_co_u32_e32 v2, vcc, 0, v2, vcc
	v_cmp_gt_i32_e32 vcc, 31, v4
	v_cndmask_b32_e32 v2, v12, v2, vcc
	v_cmp_ne_u32_e32 vcc, 0, v0
	v_cndmask_b32_e64 v0, 0, 1, vcc
	v_lshl_or_b32 v0, v0, 9, v12
	v_cmp_eq_u32_e32 vcc, s10, v4
	v_cndmask_b32_e32 v0, v2, v0, vcc
	v_lshrrev_b32_e32 v2, 16, v11
	v_and_or_b32 v2, v2, s11, v0
	v_and_or_b32 v0, v16, s6, v15
	v_cmp_ne_u32_e32 vcc, 0, v0
	v_cndmask_b32_e64 v0, 0, 1, vcc
	v_lshrrev_b32_e32 v4, 8, v16
	v_bfe_u32 v6, v16, 20, 11
	v_and_or_b32 v0, v4, s7, v0
	v_sub_u32_e32 v8, 0x3f1, v6
	v_or_b32_e32 v4, 0x1000, v0
	v_med3_i32 v8, v8, 0, 13
	v_lshrrev_b32_e32 v10, v8, v4
	v_lshlrev_b32_e32 v8, v8, v10
	v_cmp_ne_u32_e32 vcc, v8, v4
	v_cndmask_b32_e64 v4, 0, 1, vcc
	v_add_u32_e32 v6, 0xfffffc10, v6
	v_or_b32_e32 v4, v10, v4
	v_lshl_or_b32 v8, v6, 12, v0
	v_cmp_gt_i32_e32 vcc, 1, v6
	v_cndmask_b32_e32 v4, v8, v4, vcc
	v_and_b32_e32 v8, 7, v4
	v_cmp_lt_i32_e32 vcc, 5, v8
	v_cmp_eq_u32_e64 s[0:1], 3, v8
	ds_read2_b32 v[10:11], v102 offset0:64 offset1:208
	v_lshrrev_b32_e32 v4, 2, v4
	s_or_b64 vcc, s[0:1], vcc
	v_addc_co_u32_e32 v4, vcc, 0, v4, vcc
	v_cmp_gt_i32_e32 vcc, 31, v6
	v_cndmask_b32_e32 v4, v12, v4, vcc
	v_cmp_ne_u32_e32 vcc, 0, v0
	v_cndmask_b32_e64 v0, 0, 1, vcc
	v_cmp_eq_u32_e32 vcc, s10, v6
	s_waitcnt lgkmcnt(0)
	v_lshrrev_b32_e32 v6, 16, v10
	v_mul_f16_sdwa v8, v96, v6 dst_sel:DWORD dst_unused:UNUSED_PAD src0_sel:WORD_1 src1_sel:DWORD
	v_mad_u64_u32 v[17:18], s[0:1], s8, v94, 0
	v_fma_f16 v8, v96, v10, v8
	v_cvt_f32_f16_e32 v8, v8
	v_lshl_or_b32 v0, v0, 9, v12
	v_cndmask_b32_e32 v4, v4, v0, vcc
	v_mov_b32_e32 v0, v18
	v_mad_u64_u32 v[18:19], s[0:1], s9, v94, v[0:1]
	v_lshrrev_b32_e32 v0, 16, v16
	v_cvt_f64_f32_e32 v[15:16], v8
	v_lshlrev_b64 v[17:18], 2, v[17:18]
	v_and_or_b32 v0, v0, s11, v4
	v_and_b32_e32 v2, 0xffff, v2
	v_mul_f64 v[15:16], v[15:16], s[2:3]
	v_add_co_u32_e32 v17, vcc, v20, v17
	v_lshl_or_b32 v0, v0, 16, v2
	v_addc_co_u32_e32 v18, vcc, v21, v18, vcc
	global_store_dword v[17:18], v0, off
	v_mul_f16_sdwa v10, v96, v10 dst_sel:DWORD dst_unused:UNUSED_PAD src0_sel:WORD_1 src1_sel:DWORD
	v_and_or_b32 v0, v16, s6, v15
	v_cmp_ne_u32_e32 vcc, 0, v0
	v_cndmask_b32_e64 v0, 0, 1, vcc
	v_lshrrev_b32_e32 v2, 8, v16
	v_bfe_u32 v4, v16, 20, 11
	v_and_or_b32 v0, v2, s7, v0
	v_sub_u32_e32 v8, 0x3f1, v4
	v_fma_f16 v6, v96, v6, -v10
	v_or_b32_e32 v2, 0x1000, v0
	v_med3_i32 v8, v8, 0, 13
	v_cvt_f32_f16_e32 v6, v6
	v_lshrrev_b32_e32 v15, v8, v2
	v_lshlrev_b32_e32 v8, v8, v15
	v_cmp_ne_u32_e32 vcc, v8, v2
	v_cndmask_b32_e64 v2, 0, 1, vcc
	v_add_u32_e32 v4, 0xfffffc10, v4
	v_cvt_f64_f32_e32 v[17:18], v6
	v_or_b32_e32 v2, v15, v2
	v_lshl_or_b32 v8, v4, 12, v0
	v_cmp_gt_i32_e32 vcc, 1, v4
	v_cndmask_b32_e32 v2, v8, v2, vcc
	v_and_b32_e32 v8, 7, v2
	v_cmp_lt_i32_e32 vcc, 5, v8
	v_cmp_eq_u32_e64 s[0:1], 3, v8
	v_mul_f64 v[17:18], v[17:18], s[2:3]
	v_lshrrev_b32_e32 v2, 2, v2
	s_or_b64 vcc, s[0:1], vcc
	v_addc_co_u32_e32 v2, vcc, 0, v2, vcc
	v_cmp_gt_i32_e32 vcc, 31, v4
	v_cndmask_b32_e32 v2, v12, v2, vcc
	v_cmp_ne_u32_e32 vcc, 0, v0
	v_cndmask_b32_e64 v0, 0, 1, vcc
	v_lshl_or_b32 v0, v0, 9, v12
	v_cmp_eq_u32_e32 vcc, s10, v4
	v_cndmask_b32_e32 v0, v2, v0, vcc
	v_lshrrev_b32_e32 v2, 16, v16
	v_and_or_b32 v0, v2, s11, v0
	v_and_or_b32 v2, v18, s6, v17
	v_cmp_ne_u32_e32 vcc, 0, v2
	v_cndmask_b32_e64 v2, 0, 1, vcc
	v_lshrrev_b32_e32 v4, 8, v18
	v_bfe_u32 v6, v18, 20, 11
	v_and_or_b32 v2, v4, s7, v2
	v_sub_u32_e32 v8, 0x3f1, v6
	v_or_b32_e32 v4, 0x1000, v2
	v_med3_i32 v8, v8, 0, 13
	v_lshrrev_b32_e32 v10, v8, v4
	v_lshlrev_b32_e32 v8, v8, v10
	v_cmp_ne_u32_e32 vcc, v8, v4
	v_cndmask_b32_e64 v4, 0, 1, vcc
	v_add_u32_e32 v6, 0xfffffc10, v6
	v_or_b32_e32 v4, v10, v4
	v_lshl_or_b32 v8, v6, 12, v2
	v_cmp_gt_i32_e32 vcc, 1, v6
	v_cndmask_b32_e32 v4, v8, v4, vcc
	v_and_b32_e32 v8, 7, v4
	v_cmp_lt_i32_e32 vcc, 5, v8
	v_cmp_eq_u32_e64 s[0:1], 3, v8
	v_lshrrev_b32_e32 v8, 16, v1
	v_mul_f16_sdwa v10, v90, v8 dst_sel:DWORD dst_unused:UNUSED_PAD src0_sel:WORD_1 src1_sel:DWORD
	v_fma_f16 v10, v90, v1, v10
	v_cvt_f32_f16_e32 v10, v10
	v_lshrrev_b32_e32 v4, 2, v4
	s_or_b64 vcc, s[0:1], vcc
	v_addc_co_u32_e32 v4, vcc, 0, v4, vcc
	v_cvt_f64_f32_e32 v[15:16], v10
	v_cmp_gt_i32_e32 vcc, 31, v6
	v_cndmask_b32_e32 v4, v12, v4, vcc
	v_cmp_ne_u32_e32 vcc, 0, v2
	v_mul_f64 v[15:16], v[15:16], s[2:3]
	v_cndmask_b32_e64 v2, 0, 1, vcc
	v_mad_u64_u32 v[13:14], s[0:1], s8, v91, v[13:14]
	v_lshl_or_b32 v2, v2, 9, v12
	v_cmp_eq_u32_e32 vcc, s10, v6
	v_cndmask_b32_e32 v2, v4, v2, vcc
	v_lshrrev_b32_e32 v4, 16, v18
	v_and_or_b32 v2, v4, s11, v2
	v_and_b32_e32 v0, 0xffff, v0
	s_mul_i32 s0, s9, 0x1200
	v_lshl_or_b32 v0, v2, 16, v0
	v_add_u32_e32 v14, s0, v14
	global_store_dword v[13:14], v0, off
	v_and_or_b32 v0, v16, s6, v15
	v_cmp_ne_u32_e32 vcc, 0, v0
	v_cndmask_b32_e64 v0, 0, 1, vcc
	v_lshrrev_b32_e32 v2, 8, v16
	v_bfe_u32 v4, v16, 20, 11
	v_and_or_b32 v2, v2, s7, v0
	v_sub_u32_e32 v6, 0x3f1, v4
	v_or_b32_e32 v0, 0x1000, v2
	v_med3_i32 v6, v6, 0, 13
	v_lshrrev_b32_e32 v10, v6, v0
	v_lshlrev_b32_e32 v6, v6, v10
	v_mul_f16_sdwa v1, v90, v1 dst_sel:DWORD dst_unused:UNUSED_PAD src0_sel:WORD_1 src1_sel:DWORD
	v_cmp_ne_u32_e32 vcc, v6, v0
	v_fma_f16 v1, v90, v8, -v1
	v_cndmask_b32_e64 v0, 0, 1, vcc
	v_add_u32_e32 v4, 0xfffffc10, v4
	v_cvt_f32_f16_e32 v1, v1
	v_or_b32_e32 v0, v10, v0
	v_lshl_or_b32 v6, v4, 12, v2
	v_cmp_gt_i32_e32 vcc, 1, v4
	v_cndmask_b32_e32 v0, v6, v0, vcc
	v_and_b32_e32 v6, 7, v0
	v_cmp_lt_i32_e32 vcc, 5, v6
	v_cmp_eq_u32_e64 s[0:1], 3, v6
	v_lshrrev_b32_e32 v6, 2, v0
	v_cvt_f64_f32_e32 v[0:1], v1
	s_or_b64 vcc, s[0:1], vcc
	v_addc_co_u32_e32 v6, vcc, 0, v6, vcc
	v_mul_f64 v[0:1], v[0:1], s[2:3]
	v_cmp_gt_i32_e32 vcc, 31, v4
	v_cndmask_b32_e32 v6, v12, v6, vcc
	v_cmp_ne_u32_e32 vcc, 0, v2
	v_cndmask_b32_e64 v2, 0, 1, vcc
	v_lshl_or_b32 v2, v2, 9, v12
	v_cmp_eq_u32_e32 vcc, s10, v4
	v_cndmask_b32_e32 v2, v6, v2, vcc
	v_and_or_b32 v0, v1, s6, v0
	v_lshrrev_b32_e32 v4, 16, v16
	v_cmp_ne_u32_e32 vcc, 0, v0
	v_and_or_b32 v2, v4, s11, v2
	v_cndmask_b32_e64 v0, 0, 1, vcc
	v_lshrrev_b32_e32 v4, 8, v1
	v_bfe_u32 v6, v1, 20, 11
	v_and_or_b32 v0, v4, s7, v0
	v_sub_u32_e32 v8, 0x3f1, v6
	v_or_b32_e32 v4, 0x1000, v0
	v_med3_i32 v8, v8, 0, 13
	v_lshrrev_b32_e32 v10, v8, v4
	v_lshlrev_b32_e32 v8, v8, v10
	v_cmp_ne_u32_e32 vcc, v8, v4
	v_cndmask_b32_e64 v4, 0, 1, vcc
	v_add_u32_e32 v6, 0xfffffc10, v6
	v_or_b32_e32 v4, v10, v4
	v_lshl_or_b32 v8, v6, 12, v0
	v_cmp_gt_i32_e32 vcc, 1, v6
	v_cndmask_b32_e32 v4, v8, v4, vcc
	v_and_b32_e32 v8, 7, v4
	v_cmp_lt_i32_e32 vcc, 5, v8
	v_cmp_eq_u32_e64 s[0:1], 3, v8
	v_lshrrev_b32_e32 v4, 2, v4
	s_or_b64 vcc, s[0:1], vcc
	v_addc_co_u32_e32 v4, vcc, 0, v4, vcc
	v_cmp_gt_i32_e32 vcc, 31, v6
	v_cndmask_b32_e32 v4, v12, v4, vcc
	v_cmp_ne_u32_e32 vcc, 0, v0
	v_cndmask_b32_e64 v0, 0, 1, vcc
	v_lshl_or_b32 v0, v0, 9, v12
	v_cmp_eq_u32_e32 vcc, s10, v6
	v_cndmask_b32_e32 v0, v4, v0, vcc
	v_lshrrev_b32_e32 v1, 16, v1
	v_lshrrev_b32_e32 v4, 16, v3
	v_and_or_b32 v0, v1, s11, v0
	v_mul_f16_sdwa v1, v93, v4 dst_sel:DWORD dst_unused:UNUSED_PAD src0_sel:WORD_1 src1_sel:DWORD
	v_fma_f16 v1, v93, v3, v1
	v_cvt_f32_f16_e32 v1, v1
	v_and_b32_e32 v2, 0xffff, v2
	v_lshl_or_b32 v2, v0, 16, v2
	s_mul_hi_u32 s1, s8, 0xffffd540
	v_cvt_f64_f32_e32 v[0:1], v1
	s_mul_i32 s0, s9, 0xffffd540
	s_sub_i32 s9, s1, s8
	s_add_i32 s9, s9, s0
	v_mul_f64 v[0:1], v[0:1], s[2:3]
	s_mulk_i32 s8, 0xd540
	v_mov_b32_e32 v6, s9
	v_add_co_u32_e32 v13, vcc, s8, v13
	v_addc_co_u32_e32 v14, vcc, v14, v6, vcc
	global_store_dword v[13:14], v2, off
	v_and_or_b32 v0, v1, s6, v0
	v_cmp_ne_u32_e32 vcc, 0, v0
	v_cndmask_b32_e64 v0, 0, 1, vcc
	v_lshrrev_b32_e32 v2, 8, v1
	v_bfe_u32 v6, v1, 20, 11
	v_and_or_b32 v0, v2, s7, v0
	v_sub_u32_e32 v8, 0x3f1, v6
	v_or_b32_e32 v2, 0x1000, v0
	v_med3_i32 v8, v8, 0, 13
	v_lshrrev_b32_e32 v10, v8, v2
	v_mul_f16_sdwa v3, v93, v3 dst_sel:DWORD dst_unused:UNUSED_PAD src0_sel:WORD_1 src1_sel:DWORD
	v_lshlrev_b32_e32 v8, v8, v10
	v_fma_f16 v3, v93, v4, -v3
	v_cmp_ne_u32_e32 vcc, v8, v2
	v_cvt_f32_f16_e32 v3, v3
	v_cndmask_b32_e64 v2, 0, 1, vcc
	v_add_u32_e32 v6, 0xfffffc10, v6
	v_or_b32_e32 v2, v10, v2
	v_lshl_or_b32 v8, v6, 12, v0
	v_cmp_gt_i32_e32 vcc, 1, v6
	v_cndmask_b32_e32 v2, v8, v2, vcc
	v_and_b32_e32 v8, 7, v2
	v_lshrrev_b32_e32 v4, 2, v2
	v_cvt_f64_f32_e32 v[2:3], v3
	v_cmp_lt_i32_e32 vcc, 5, v8
	v_cmp_eq_u32_e64 s[0:1], 3, v8
	s_or_b64 vcc, s[0:1], vcc
	v_mul_f64 v[2:3], v[2:3], s[2:3]
	v_addc_co_u32_e32 v4, vcc, 0, v4, vcc
	v_cmp_gt_i32_e32 vcc, 31, v6
	v_cndmask_b32_e32 v4, v12, v4, vcc
	v_cmp_ne_u32_e32 vcc, 0, v0
	v_cndmask_b32_e64 v0, 0, 1, vcc
	v_lshl_or_b32 v0, v0, 9, v12
	v_cmp_eq_u32_e32 vcc, s10, v6
	v_cndmask_b32_e32 v0, v4, v0, vcc
	v_lshrrev_b32_e32 v1, 16, v1
	v_and_or_b32 v4, v1, s11, v0
	v_and_or_b32 v0, v3, s6, v2
	v_cmp_ne_u32_e32 vcc, 0, v0
	v_cndmask_b32_e64 v0, 0, 1, vcc
	v_lshrrev_b32_e32 v1, 8, v3
	v_bfe_u32 v2, v3, 20, 11
	v_and_or_b32 v0, v1, s7, v0
	v_sub_u32_e32 v6, 0x3f1, v2
	v_or_b32_e32 v1, 0x1000, v0
	v_med3_i32 v6, v6, 0, 13
	v_lshrrev_b32_e32 v8, v6, v1
	v_lshlrev_b32_e32 v6, v6, v8
	v_cmp_ne_u32_e32 vcc, v6, v1
	v_cndmask_b32_e64 v1, 0, 1, vcc
	v_add_u32_e32 v2, 0xfffffc10, v2
	v_or_b32_e32 v1, v8, v1
	v_lshl_or_b32 v6, v2, 12, v0
	v_cmp_gt_i32_e32 vcc, 1, v2
	v_cndmask_b32_e32 v1, v6, v1, vcc
	v_and_b32_e32 v6, 7, v1
	v_cmp_lt_i32_e32 vcc, 5, v6
	v_cmp_eq_u32_e64 s[0:1], 3, v6
	v_lshrrev_b32_e32 v6, 16, v5
	v_lshrrev_b32_e32 v1, 2, v1
	s_or_b64 vcc, s[0:1], vcc
	v_mul_f16_sdwa v8, v92, v6 dst_sel:DWORD dst_unused:UNUSED_PAD src0_sel:WORD_1 src1_sel:DWORD
	v_addc_co_u32_e32 v1, vcc, 0, v1, vcc
	v_fma_f16 v8, v92, v5, v8
	v_cmp_gt_i32_e32 vcc, 31, v2
	v_cvt_f32_f16_e32 v8, v8
	v_cndmask_b32_e32 v1, v12, v1, vcc
	v_cmp_ne_u32_e32 vcc, 0, v0
	v_cndmask_b32_e64 v0, 0, 1, vcc
	v_lshl_or_b32 v0, v0, 9, v12
	v_cmp_eq_u32_e32 vcc, s10, v2
	v_cndmask_b32_e32 v2, v1, v0, vcc
	v_cvt_f64_f32_e32 v[0:1], v8
	v_lshrrev_b32_e32 v3, 16, v3
	v_and_or_b32 v2, v3, s11, v2
	v_and_b32_e32 v3, 0xffff, v4
	v_mul_f64 v[0:1], v[0:1], s[2:3]
	v_lshl_or_b32 v4, v2, 16, v3
	v_mov_b32_e32 v3, s4
	v_add_co_u32_e32 v2, vcc, s5, v13
	v_addc_co_u32_e32 v3, vcc, v14, v3, vcc
	global_store_dword v[2:3], v4, off
	v_and_or_b32 v0, v1, s6, v0
	v_cmp_ne_u32_e32 vcc, 0, v0
	v_cndmask_b32_e64 v0, 0, 1, vcc
	v_lshrrev_b32_e32 v4, 8, v1
	v_bfe_u32 v8, v1, 20, 11
	v_and_or_b32 v0, v4, s7, v0
	v_sub_u32_e32 v10, 0x3f1, v8
	v_or_b32_e32 v4, 0x1000, v0
	v_med3_i32 v10, v10, 0, 13
	v_lshrrev_b32_e32 v13, v10, v4
	v_mul_f16_sdwa v5, v92, v5 dst_sel:DWORD dst_unused:UNUSED_PAD src0_sel:WORD_1 src1_sel:DWORD
	v_lshlrev_b32_e32 v10, v10, v13
	v_fma_f16 v5, v92, v6, -v5
	v_cmp_ne_u32_e32 vcc, v10, v4
	v_cvt_f32_f16_e32 v5, v5
	v_cndmask_b32_e64 v4, 0, 1, vcc
	v_add_u32_e32 v8, 0xfffffc10, v8
	v_or_b32_e32 v4, v13, v4
	v_lshl_or_b32 v10, v8, 12, v0
	v_cmp_gt_i32_e32 vcc, 1, v8
	v_cndmask_b32_e32 v4, v10, v4, vcc
	v_and_b32_e32 v10, 7, v4
	v_lshrrev_b32_e32 v6, 2, v4
	v_cvt_f64_f32_e32 v[4:5], v5
	v_cmp_lt_i32_e32 vcc, 5, v10
	v_cmp_eq_u32_e64 s[0:1], 3, v10
	s_or_b64 vcc, s[0:1], vcc
	v_mul_f64 v[4:5], v[4:5], s[2:3]
	v_addc_co_u32_e32 v6, vcc, 0, v6, vcc
	v_cmp_gt_i32_e32 vcc, 31, v8
	v_cndmask_b32_e32 v6, v12, v6, vcc
	v_cmp_ne_u32_e32 vcc, 0, v0
	v_cndmask_b32_e64 v0, 0, 1, vcc
	v_lshl_or_b32 v0, v0, 9, v12
	v_cmp_eq_u32_e32 vcc, s10, v8
	v_cndmask_b32_e32 v0, v6, v0, vcc
	v_lshrrev_b32_e32 v1, 16, v1
	v_and_or_b32 v6, v1, s11, v0
	v_and_or_b32 v0, v5, s6, v4
	v_cmp_ne_u32_e32 vcc, 0, v0
	v_cndmask_b32_e64 v0, 0, 1, vcc
	v_lshrrev_b32_e32 v1, 8, v5
	v_bfe_u32 v4, v5, 20, 11
	v_and_or_b32 v0, v1, s7, v0
	v_sub_u32_e32 v8, 0x3f1, v4
	v_or_b32_e32 v1, 0x1000, v0
	v_med3_i32 v8, v8, 0, 13
	v_lshrrev_b32_e32 v10, v8, v1
	v_lshlrev_b32_e32 v8, v8, v10
	v_cmp_ne_u32_e32 vcc, v8, v1
	v_cndmask_b32_e64 v1, 0, 1, vcc
	v_add_u32_e32 v4, 0xfffffc10, v4
	v_or_b32_e32 v1, v10, v1
	v_lshl_or_b32 v8, v4, 12, v0
	v_cmp_gt_i32_e32 vcc, 1, v4
	v_cndmask_b32_e32 v1, v8, v1, vcc
	v_and_b32_e32 v8, 7, v1
	v_cmp_lt_i32_e32 vcc, 5, v8
	v_cmp_eq_u32_e64 s[0:1], 3, v8
	v_lshrrev_b32_e32 v8, 16, v7
	v_lshrrev_b32_e32 v1, 2, v1
	s_or_b64 vcc, s[0:1], vcc
	v_mul_f16_sdwa v10, v89, v8 dst_sel:DWORD dst_unused:UNUSED_PAD src0_sel:WORD_1 src1_sel:DWORD
	v_addc_co_u32_e32 v1, vcc, 0, v1, vcc
	v_fma_f16 v10, v89, v7, v10
	v_cmp_gt_i32_e32 vcc, 31, v4
	v_cvt_f32_f16_e32 v10, v10
	v_cndmask_b32_e32 v1, v12, v1, vcc
	v_cmp_ne_u32_e32 vcc, 0, v0
	v_cndmask_b32_e64 v0, 0, 1, vcc
	v_lshl_or_b32 v0, v0, 9, v12
	v_cmp_eq_u32_e32 vcc, s10, v4
	v_cndmask_b32_e32 v4, v1, v0, vcc
	v_cvt_f64_f32_e32 v[0:1], v10
	v_lshrrev_b32_e32 v5, 16, v5
	v_and_or_b32 v4, v5, s11, v4
	v_and_b32_e32 v5, 0xffff, v6
	v_mul_f64 v[0:1], v[0:1], s[2:3]
	v_lshl_or_b32 v4, v4, 16, v5
	v_mov_b32_e32 v5, s4
	v_add_co_u32_e32 v2, vcc, s5, v2
	v_addc_co_u32_e32 v3, vcc, v3, v5, vcc
	global_store_dword v[2:3], v4, off
	v_and_or_b32 v0, v1, s6, v0
	v_cmp_ne_u32_e32 vcc, 0, v0
	v_cndmask_b32_e64 v0, 0, 1, vcc
	v_lshrrev_b32_e32 v4, 8, v1
	v_bfe_u32 v5, v1, 20, 11
	v_and_or_b32 v0, v4, s7, v0
	v_sub_u32_e32 v6, 0x3f1, v5
	v_or_b32_e32 v4, 0x1000, v0
	v_med3_i32 v6, v6, 0, 13
	v_lshrrev_b32_e32 v10, v6, v4
	v_lshlrev_b32_e32 v6, v6, v10
	v_mul_f16_sdwa v7, v89, v7 dst_sel:DWORD dst_unused:UNUSED_PAD src0_sel:WORD_1 src1_sel:DWORD
	v_cmp_ne_u32_e32 vcc, v6, v4
	v_fma_f16 v7, v89, v8, -v7
	v_cndmask_b32_e64 v4, 0, 1, vcc
	v_add_u32_e32 v6, 0xfffffc10, v5
	v_cvt_f32_f16_e32 v7, v7
	v_or_b32_e32 v4, v10, v4
	v_lshl_or_b32 v5, v6, 12, v0
	v_cmp_gt_i32_e32 vcc, 1, v6
	v_cndmask_b32_e32 v4, v5, v4, vcc
	v_and_b32_e32 v5, 7, v4
	v_cmp_lt_i32_e32 vcc, 5, v5
	v_cmp_eq_u32_e64 s[0:1], 3, v5
	v_lshrrev_b32_e32 v8, 2, v4
	v_cvt_f64_f32_e32 v[4:5], v7
	s_or_b64 vcc, s[0:1], vcc
	v_addc_co_u32_e32 v7, vcc, 0, v8, vcc
	v_mul_f64 v[4:5], v[4:5], s[2:3]
	v_cmp_gt_i32_e32 vcc, 31, v6
	v_cndmask_b32_e32 v7, v12, v7, vcc
	v_cmp_ne_u32_e32 vcc, 0, v0
	v_cndmask_b32_e64 v0, 0, 1, vcc
	v_lshl_or_b32 v0, v0, 9, v12
	v_cmp_eq_u32_e32 vcc, s10, v6
	v_cndmask_b32_e32 v0, v7, v0, vcc
	v_lshrrev_b32_e32 v1, 16, v1
	v_and_or_b32 v6, v1, s11, v0
	v_and_or_b32 v0, v5, s6, v4
	v_cmp_ne_u32_e32 vcc, 0, v0
	v_cndmask_b32_e64 v0, 0, 1, vcc
	v_lshrrev_b32_e32 v1, 8, v5
	v_bfe_u32 v4, v5, 20, 11
	v_and_or_b32 v0, v1, s7, v0
	v_sub_u32_e32 v7, 0x3f1, v4
	v_or_b32_e32 v1, 0x1000, v0
	v_med3_i32 v7, v7, 0, 13
	v_lshrrev_b32_e32 v8, v7, v1
	v_lshlrev_b32_e32 v7, v7, v8
	v_cmp_ne_u32_e32 vcc, v7, v1
	v_cndmask_b32_e64 v1, 0, 1, vcc
	v_add_u32_e32 v4, 0xfffffc10, v4
	v_or_b32_e32 v1, v8, v1
	v_lshl_or_b32 v7, v4, 12, v0
	v_cmp_gt_i32_e32 vcc, 1, v4
	v_cndmask_b32_e32 v1, v7, v1, vcc
	v_and_b32_e32 v7, 7, v1
	v_cmp_lt_i32_e32 vcc, 5, v7
	v_cmp_eq_u32_e64 s[0:1], 3, v7
	v_lshrrev_b32_e32 v7, 16, v9
	v_lshrrev_b32_e32 v1, 2, v1
	s_or_b64 vcc, s[0:1], vcc
	v_mul_f16_sdwa v8, v86, v7 dst_sel:DWORD dst_unused:UNUSED_PAD src0_sel:WORD_1 src1_sel:DWORD
	v_addc_co_u32_e32 v1, vcc, 0, v1, vcc
	v_fma_f16 v8, v86, v9, v8
	v_cmp_gt_i32_e32 vcc, 31, v4
	v_cvt_f32_f16_e32 v8, v8
	v_cndmask_b32_e32 v1, v12, v1, vcc
	v_cmp_ne_u32_e32 vcc, 0, v0
	v_cndmask_b32_e64 v0, 0, 1, vcc
	v_lshl_or_b32 v0, v0, 9, v12
	v_cmp_eq_u32_e32 vcc, s10, v4
	v_cndmask_b32_e32 v4, v1, v0, vcc
	v_cvt_f64_f32_e32 v[0:1], v8
	v_lshrrev_b32_e32 v5, 16, v5
	v_and_or_b32 v4, v5, s11, v4
	v_and_b32_e32 v5, 0xffff, v6
	v_mul_f64 v[0:1], v[0:1], s[2:3]
	v_lshl_or_b32 v4, v4, 16, v5
	v_mov_b32_e32 v5, s4
	v_add_co_u32_e32 v2, vcc, s5, v2
	v_addc_co_u32_e32 v3, vcc, v3, v5, vcc
	global_store_dword v[2:3], v4, off
	v_and_or_b32 v0, v1, s6, v0
	v_cmp_ne_u32_e32 vcc, 0, v0
	v_cndmask_b32_e64 v0, 0, 1, vcc
	v_lshrrev_b32_e32 v4, 8, v1
	v_bfe_u32 v5, v1, 20, 11
	v_and_or_b32 v0, v4, s7, v0
	v_sub_u32_e32 v6, 0x3f1, v5
	v_or_b32_e32 v4, 0x1000, v0
	v_med3_i32 v6, v6, 0, 13
	v_lshrrev_b32_e32 v8, v6, v4
	v_lshlrev_b32_e32 v6, v6, v8
	v_cmp_ne_u32_e32 vcc, v6, v4
	v_cndmask_b32_e64 v4, 0, 1, vcc
	v_or_b32_e32 v4, v8, v4
	v_mul_f16_sdwa v8, v86, v9 dst_sel:DWORD dst_unused:UNUSED_PAD src0_sel:WORD_1 src1_sel:DWORD
	v_fma_f16 v7, v86, v7, -v8
	v_add_u32_e32 v6, 0xfffffc10, v5
	v_cvt_f32_f16_e32 v7, v7
	v_lshl_or_b32 v5, v6, 12, v0
	v_cmp_gt_i32_e32 vcc, 1, v6
	v_cndmask_b32_e32 v4, v5, v4, vcc
	v_and_b32_e32 v5, 7, v4
	v_cmp_lt_i32_e32 vcc, 5, v5
	v_cmp_eq_u32_e64 s[0:1], 3, v5
	v_lshrrev_b32_e32 v8, 2, v4
	v_cvt_f64_f32_e32 v[4:5], v7
	s_or_b64 vcc, s[0:1], vcc
	v_addc_co_u32_e32 v7, vcc, 0, v8, vcc
	v_mul_f64 v[4:5], v[4:5], s[2:3]
	v_cmp_gt_i32_e32 vcc, 31, v6
	v_cndmask_b32_e32 v7, v12, v7, vcc
	v_cmp_ne_u32_e32 vcc, 0, v0
	v_cndmask_b32_e64 v0, 0, 1, vcc
	v_lshl_or_b32 v0, v0, 9, v12
	v_cmp_eq_u32_e32 vcc, s10, v6
	v_cndmask_b32_e32 v0, v7, v0, vcc
	v_lshrrev_b32_e32 v1, 16, v1
	v_and_or_b32 v6, v1, s11, v0
	v_and_or_b32 v0, v5, s6, v4
	v_cmp_ne_u32_e32 vcc, 0, v0
	v_cndmask_b32_e64 v0, 0, 1, vcc
	v_lshrrev_b32_e32 v1, 8, v5
	v_bfe_u32 v4, v5, 20, 11
	v_and_or_b32 v0, v1, s7, v0
	v_sub_u32_e32 v7, 0x3f1, v4
	v_or_b32_e32 v1, 0x1000, v0
	v_med3_i32 v7, v7, 0, 13
	v_lshrrev_b32_e32 v8, v7, v1
	v_lshlrev_b32_e32 v7, v7, v8
	v_cmp_ne_u32_e32 vcc, v7, v1
	v_cndmask_b32_e64 v1, 0, 1, vcc
	v_add_u32_e32 v4, 0xfffffc10, v4
	v_or_b32_e32 v1, v8, v1
	v_lshl_or_b32 v7, v4, 12, v0
	v_cmp_gt_i32_e32 vcc, 1, v4
	v_cndmask_b32_e32 v1, v7, v1, vcc
	v_and_b32_e32 v7, 7, v1
	v_cmp_lt_i32_e32 vcc, 5, v7
	v_cmp_eq_u32_e64 s[0:1], 3, v7
	v_lshrrev_b32_e32 v7, 16, v11
	v_lshrrev_b32_e32 v1, 2, v1
	s_or_b64 vcc, s[0:1], vcc
	v_mul_f16_sdwa v8, v84, v7 dst_sel:DWORD dst_unused:UNUSED_PAD src0_sel:WORD_1 src1_sel:DWORD
	v_addc_co_u32_e32 v1, vcc, 0, v1, vcc
	v_fma_f16 v8, v84, v11, v8
	v_cmp_gt_i32_e32 vcc, 31, v4
	v_cvt_f32_f16_e32 v8, v8
	v_cndmask_b32_e32 v1, v12, v1, vcc
	v_cmp_ne_u32_e32 vcc, 0, v0
	v_cndmask_b32_e64 v0, 0, 1, vcc
	v_lshl_or_b32 v0, v0, 9, v12
	v_cmp_eq_u32_e32 vcc, s10, v4
	v_cndmask_b32_e32 v4, v1, v0, vcc
	v_cvt_f64_f32_e32 v[0:1], v8
	v_lshrrev_b32_e32 v5, 16, v5
	v_and_or_b32 v4, v5, s11, v4
	v_and_b32_e32 v5, 0xffff, v6
	v_mul_f64 v[0:1], v[0:1], s[2:3]
	v_lshl_or_b32 v4, v4, 16, v5
	v_mov_b32_e32 v5, s4
	v_add_co_u32_e32 v2, vcc, s5, v2
	v_addc_co_u32_e32 v3, vcc, v3, v5, vcc
	global_store_dword v[2:3], v4, off
	v_and_or_b32 v0, v1, s6, v0
	v_cmp_ne_u32_e32 vcc, 0, v0
	v_cndmask_b32_e64 v0, 0, 1, vcc
	v_lshrrev_b32_e32 v4, 8, v1
	v_bfe_u32 v5, v1, 20, 11
	v_and_or_b32 v0, v4, s7, v0
	v_sub_u32_e32 v6, 0x3f1, v5
	v_or_b32_e32 v4, 0x1000, v0
	v_med3_i32 v6, v6, 0, 13
	v_lshrrev_b32_e32 v8, v6, v4
	v_lshlrev_b32_e32 v6, v6, v8
	v_cmp_ne_u32_e32 vcc, v6, v4
	v_cndmask_b32_e64 v4, 0, 1, vcc
	v_or_b32_e32 v4, v8, v4
	v_mul_f16_sdwa v8, v84, v11 dst_sel:DWORD dst_unused:UNUSED_PAD src0_sel:WORD_1 src1_sel:DWORD
	v_fma_f16 v7, v84, v7, -v8
	v_add_u32_e32 v6, 0xfffffc10, v5
	v_cvt_f32_f16_e32 v7, v7
	v_lshl_or_b32 v5, v6, 12, v0
	v_cmp_gt_i32_e32 vcc, 1, v6
	v_cndmask_b32_e32 v4, v5, v4, vcc
	v_and_b32_e32 v5, 7, v4
	v_cmp_lt_i32_e32 vcc, 5, v5
	v_cmp_eq_u32_e64 s[0:1], 3, v5
	v_lshrrev_b32_e32 v8, 2, v4
	v_cvt_f64_f32_e32 v[4:5], v7
	s_or_b64 vcc, s[0:1], vcc
	v_addc_co_u32_e32 v7, vcc, 0, v8, vcc
	v_mul_f64 v[4:5], v[4:5], s[2:3]
	v_cmp_gt_i32_e32 vcc, 31, v6
	v_cndmask_b32_e32 v7, v12, v7, vcc
	v_cmp_ne_u32_e32 vcc, 0, v0
	v_cndmask_b32_e64 v0, 0, 1, vcc
	v_lshl_or_b32 v0, v0, 9, v12
	v_cmp_eq_u32_e32 vcc, s10, v6
	v_cndmask_b32_e32 v0, v7, v0, vcc
	v_lshrrev_b32_e32 v1, 16, v1
	v_and_or_b32 v8, v1, s11, v0
	v_and_or_b32 v0, v5, s6, v4
	v_cmp_ne_u32_e32 vcc, 0, v0
	v_cndmask_b32_e64 v0, 0, 1, vcc
	v_lshrrev_b32_e32 v1, 8, v5
	v_and_or_b32 v4, v1, s7, v0
	v_bfe_u32 v1, v5, 20, 11
	v_sub_u32_e32 v6, 0x3f1, v1
	v_or_b32_e32 v0, 0x1000, v4
	v_med3_i32 v6, v6, 0, 13
	v_lshrrev_b32_e32 v7, v6, v0
	v_lshlrev_b32_e32 v6, v6, v7
	v_cmp_ne_u32_e32 vcc, v6, v0
	v_cndmask_b32_e64 v0, 0, 1, vcc
	v_add_u32_e32 v6, 0xfffffc10, v1
	v_or_b32_e32 v0, v7, v0
	v_lshl_or_b32 v1, v6, 12, v4
	v_cmp_gt_i32_e32 vcc, 1, v6
	v_cndmask_b32_e32 v0, v1, v0, vcc
	v_and_b32_e32 v1, 7, v0
	v_cmp_lt_i32_e32 vcc, 5, v1
	v_cmp_eq_u32_e64 s[0:1], 3, v1
	v_lshrrev_b32_e32 v0, 2, v0
	s_or_b64 vcc, s[0:1], vcc
	v_addc_co_u32_e32 v7, vcc, 0, v0, vcc
	ds_read2_b32 v[0:1], v88 offset0:32 offset1:176
	v_cmp_gt_i32_e32 vcc, 31, v6
	v_cndmask_b32_e32 v7, v12, v7, vcc
	v_cmp_ne_u32_e32 vcc, 0, v4
	v_cndmask_b32_e64 v4, 0, 1, vcc
	s_waitcnt lgkmcnt(0)
	v_lshrrev_b32_e32 v9, 16, v0
	v_mul_f16_sdwa v10, v79, v9 dst_sel:DWORD dst_unused:UNUSED_PAD src0_sel:WORD_1 src1_sel:DWORD
	v_fma_f16 v10, v79, v0, v10
	v_cvt_f32_f16_e32 v10, v10
	v_lshl_or_b32 v4, v4, 9, v12
	v_cmp_eq_u32_e32 vcc, s10, v6
	v_cndmask_b32_e32 v4, v7, v4, vcc
	v_cvt_f64_f32_e32 v[6:7], v10
	v_lshrrev_b32_e32 v5, 16, v5
	v_and_or_b32 v10, v5, s11, v4
	v_and_b32_e32 v8, 0xffff, v8
	v_mul_f64 v[4:5], v[6:7], s[2:3]
	v_mov_b32_e32 v7, s4
	v_add_co_u32_e32 v6, vcc, s5, v2
	v_addc_co_u32_e32 v7, vcc, v3, v7, vcc
	v_lshl_or_b32 v8, v10, 16, v8
	global_store_dword v[6:7], v8, off
	v_and_or_b32 v2, v5, s6, v4
	v_cmp_ne_u32_e32 vcc, 0, v2
	v_cndmask_b32_e64 v2, 0, 1, vcc
	v_lshrrev_b32_e32 v3, 8, v5
	v_and_or_b32 v8, v3, s7, v2
	v_bfe_u32 v3, v5, 20, 11
	v_sub_u32_e32 v4, 0x3f1, v3
	v_or_b32_e32 v2, 0x1000, v8
	v_med3_i32 v4, v4, 0, 13
	v_lshrrev_b32_e32 v10, v4, v2
	v_lshlrev_b32_e32 v4, v4, v10
	v_cmp_ne_u32_e32 vcc, v4, v2
	v_mul_f16_sdwa v0, v79, v0 dst_sel:DWORD dst_unused:UNUSED_PAD src0_sel:WORD_1 src1_sel:DWORD
	v_cndmask_b32_e64 v2, 0, 1, vcc
	v_fma_f16 v0, v79, v9, -v0
	v_or_b32_e32 v2, v10, v2
	v_add_u32_e32 v10, 0xfffffc10, v3
	v_cvt_f32_f16_e32 v0, v0
	v_lshl_or_b32 v3, v10, 12, v8
	v_cmp_gt_i32_e32 vcc, 1, v10
	v_cndmask_b32_e32 v2, v3, v2, vcc
	v_and_b32_e32 v3, 7, v2
	v_cmp_lt_i32_e32 vcc, 5, v3
	v_cmp_eq_u32_e64 s[0:1], 3, v3
	v_lshrrev_b32_e32 v4, 2, v2
	v_cvt_f64_f32_e32 v[2:3], v0
	s_or_b64 vcc, s[0:1], vcc
	v_addc_co_u32_e32 v0, vcc, 0, v4, vcc
	v_mul_f64 v[3:4], v[2:3], s[2:3]
	v_cmp_gt_i32_e32 vcc, 31, v10
	v_cndmask_b32_e32 v0, v12, v0, vcc
	v_cmp_ne_u32_e32 vcc, 0, v8
	v_cndmask_b32_e64 v2, 0, 1, vcc
	v_lshl_or_b32 v2, v2, 9, v12
	v_cmp_eq_u32_e32 vcc, s10, v10
	v_cndmask_b32_e32 v0, v0, v2, vcc
	v_lshrrev_b32_e32 v2, 16, v5
	v_and_or_b32 v0, v2, s11, v0
	v_and_or_b32 v2, v4, s6, v3
	v_cmp_ne_u32_e32 vcc, 0, v2
	v_cndmask_b32_e64 v2, 0, 1, vcc
	v_lshrrev_b32_e32 v3, 8, v4
	v_and_or_b32 v5, v3, s7, v2
	v_bfe_u32 v3, v4, 20, 11
	v_sub_u32_e32 v8, 0x3f1, v3
	v_or_b32_e32 v2, 0x1000, v5
	v_med3_i32 v8, v8, 0, 13
	v_lshrrev_b32_e32 v9, v8, v2
	v_lshlrev_b32_e32 v8, v8, v9
	v_cmp_ne_u32_e32 vcc, v8, v2
	v_cndmask_b32_e64 v2, 0, 1, vcc
	v_add_u32_e32 v8, 0xfffffc10, v3
	v_or_b32_e32 v2, v9, v2
	v_lshl_or_b32 v3, v8, 12, v5
	v_cmp_gt_i32_e32 vcc, 1, v8
	v_cndmask_b32_e32 v2, v3, v2, vcc
	v_and_b32_e32 v3, 7, v2
	v_cmp_lt_i32_e32 vcc, 5, v3
	v_cmp_eq_u32_e64 s[0:1], 3, v3
	v_lshrrev_b32_e32 v2, 2, v2
	s_or_b64 vcc, s[0:1], vcc
	v_addc_co_u32_e32 v9, vcc, 0, v2, vcc
	ds_read2_b32 v[2:3], v87 offset0:96 offset1:240
	v_cmp_gt_i32_e32 vcc, 31, v8
	v_cndmask_b32_e32 v9, v12, v9, vcc
	v_cmp_ne_u32_e32 vcc, 0, v5
	v_cndmask_b32_e64 v5, 0, 1, vcc
	s_waitcnt lgkmcnt(0)
	v_lshrrev_b32_e32 v10, 16, v2
	v_mul_f16_sdwa v11, v78, v10 dst_sel:DWORD dst_unused:UNUSED_PAD src0_sel:WORD_1 src1_sel:DWORD
	v_fma_f16 v11, v78, v2, v11
	v_cvt_f32_f16_e32 v11, v11
	v_lshl_or_b32 v5, v5, 9, v12
	v_cmp_eq_u32_e32 vcc, s10, v8
	v_cndmask_b32_e32 v5, v9, v5, vcc
	v_cvt_f64_f32_e32 v[8:9], v11
	v_lshrrev_b32_e32 v4, 16, v4
	v_and_or_b32 v11, v4, s11, v5
	v_and_b32_e32 v0, 0xffff, v0
	v_mul_f64 v[4:5], v[8:9], s[2:3]
	v_mov_b32_e32 v8, s9
	v_add_co_u32_e32 v6, vcc, s8, v6
	v_lshl_or_b32 v0, v11, 16, v0
	v_addc_co_u32_e32 v7, vcc, v7, v8, vcc
	global_store_dword v[6:7], v0, off
	v_and_or_b32 v0, v5, s6, v4
	v_cmp_ne_u32_e32 vcc, 0, v0
	v_cndmask_b32_e64 v0, 0, 1, vcc
	v_lshrrev_b32_e32 v4, 8, v5
	v_bfe_u32 v8, v5, 20, 11
	v_and_or_b32 v0, v4, s7, v0
	v_sub_u32_e32 v9, 0x3f1, v8
	v_or_b32_e32 v4, 0x1000, v0
	v_med3_i32 v9, v9, 0, 13
	v_lshrrev_b32_e32 v11, v9, v4
	v_lshlrev_b32_e32 v9, v9, v11
	v_cmp_ne_u32_e32 vcc, v9, v4
	v_mul_f16_sdwa v2, v78, v2 dst_sel:DWORD dst_unused:UNUSED_PAD src0_sel:WORD_1 src1_sel:DWORD
	v_cndmask_b32_e64 v4, 0, 1, vcc
	v_fma_f16 v2, v78, v10, -v2
	v_or_b32_e32 v4, v11, v4
	v_add_u32_e32 v11, 0xfffffc10, v8
	v_cvt_f32_f16_e32 v2, v2
	v_lshl_or_b32 v8, v11, 12, v0
	v_cmp_gt_i32_e32 vcc, 1, v11
	v_cndmask_b32_e32 v4, v8, v4, vcc
	v_and_b32_e32 v8, 7, v4
	v_cmp_lt_i32_e32 vcc, 5, v8
	v_cmp_eq_u32_e64 s[0:1], 3, v8
	v_cvt_f64_f32_e32 v[8:9], v2
	v_lshrrev_b32_e32 v4, 2, v4
	s_or_b64 vcc, s[0:1], vcc
	v_addc_co_u32_e32 v2, vcc, 0, v4, vcc
	v_mul_f64 v[8:9], v[8:9], s[2:3]
	v_cmp_gt_i32_e32 vcc, 31, v11
	v_cndmask_b32_e32 v2, v12, v2, vcc
	v_cmp_ne_u32_e32 vcc, 0, v0
	v_cndmask_b32_e64 v0, 0, 1, vcc
	v_lshl_or_b32 v0, v0, 9, v12
	v_cmp_eq_u32_e32 vcc, s10, v11
	v_cndmask_b32_e32 v0, v2, v0, vcc
	v_lshrrev_b32_e32 v2, 16, v5
	v_and_or_b32 v0, v2, s11, v0
	v_and_or_b32 v2, v9, s6, v8
	v_cmp_ne_u32_e32 vcc, 0, v2
	v_cndmask_b32_e64 v2, 0, 1, vcc
	v_lshrrev_b32_e32 v4, 8, v9
	v_bfe_u32 v5, v9, 20, 11
	v_and_or_b32 v2, v4, s7, v2
	v_sub_u32_e32 v8, 0x3f1, v5
	v_or_b32_e32 v4, 0x1000, v2
	v_med3_i32 v8, v8, 0, 13
	v_lshrrev_b32_e32 v10, v8, v4
	v_lshlrev_b32_e32 v8, v8, v10
	v_cmp_ne_u32_e32 vcc, v8, v4
	v_cndmask_b32_e64 v4, 0, 1, vcc
	v_add_u32_e32 v8, 0xfffffc10, v5
	v_or_b32_e32 v4, v10, v4
	v_lshl_or_b32 v5, v8, 12, v2
	v_cmp_gt_i32_e32 vcc, 1, v8
	v_cndmask_b32_e32 v4, v5, v4, vcc
	v_and_b32_e32 v5, 7, v4
	v_cmp_lt_i32_e32 vcc, 5, v5
	v_cmp_eq_u32_e64 s[0:1], 3, v5
	v_lshrrev_b32_e32 v4, 2, v4
	s_or_b64 vcc, s[0:1], vcc
	v_addc_co_u32_e32 v10, vcc, 0, v4, vcc
	ds_read2_b32 v[4:5], v85 offset0:32 offset1:176
	v_cmp_gt_i32_e32 vcc, 31, v8
	v_cndmask_b32_e32 v10, v12, v10, vcc
	v_cmp_ne_u32_e32 vcc, 0, v2
	v_cndmask_b32_e64 v2, 0, 1, vcc
	s_waitcnt lgkmcnt(0)
	v_lshrrev_b32_e32 v13, 16, v4
	v_mul_f16_sdwa v11, v80, v13 dst_sel:DWORD dst_unused:UNUSED_PAD src0_sel:WORD_1 src1_sel:DWORD
	v_fma_f16 v11, v80, v4, v11
	v_cvt_f32_f16_e32 v11, v11
	v_lshl_or_b32 v2, v2, 9, v12
	v_cmp_eq_u32_e32 vcc, s10, v8
	v_cndmask_b32_e32 v2, v10, v2, vcc
	v_cvt_f64_f32_e32 v[10:11], v11
	v_lshrrev_b32_e32 v8, 16, v9
	v_and_or_b32 v2, v8, s11, v2
	v_and_b32_e32 v0, 0xffff, v0
	v_mul_f64 v[8:9], v[10:11], s[2:3]
	v_lshl_or_b32 v0, v2, 16, v0
	v_mov_b32_e32 v2, s4
	v_add_co_u32_e32 v10, vcc, s5, v6
	v_addc_co_u32_e32 v11, vcc, v7, v2, vcc
	global_store_dword v[10:11], v0, off
	v_and_or_b32 v0, v9, s6, v8
	v_cmp_ne_u32_e32 vcc, 0, v0
	v_cndmask_b32_e64 v0, 0, 1, vcc
	v_lshrrev_b32_e32 v2, 8, v9
	v_bfe_u32 v6, v9, 20, 11
	v_and_or_b32 v0, v2, s7, v0
	v_sub_u32_e32 v7, 0x3f1, v6
	v_or_b32_e32 v2, 0x1000, v0
	v_med3_i32 v7, v7, 0, 13
	v_lshrrev_b32_e32 v8, v7, v2
	v_lshlrev_b32_e32 v7, v7, v8
	v_mul_f16_sdwa v4, v80, v4 dst_sel:DWORD dst_unused:UNUSED_PAD src0_sel:WORD_1 src1_sel:DWORD
	v_cmp_ne_u32_e32 vcc, v7, v2
	v_fma_f16 v4, v80, v13, -v4
	v_cndmask_b32_e64 v2, 0, 1, vcc
	v_add_u32_e32 v14, 0xfffffc10, v6
	v_cvt_f32_f16_e32 v4, v4
	v_or_b32_e32 v2, v8, v2
	v_lshl_or_b32 v6, v14, 12, v0
	v_cmp_gt_i32_e32 vcc, 1, v14
	v_cndmask_b32_e32 v2, v6, v2, vcc
	v_and_b32_e32 v6, 7, v2
	v_cmp_lt_i32_e32 vcc, 5, v6
	v_cmp_eq_u32_e64 s[0:1], 3, v6
	v_cvt_f64_f32_e32 v[6:7], v4
	v_lshrrev_b32_e32 v2, 2, v2
	s_or_b64 vcc, s[0:1], vcc
	v_addc_co_u32_e32 v2, vcc, 0, v2, vcc
	v_mul_f64 v[7:8], v[6:7], s[2:3]
	v_cmp_gt_i32_e32 vcc, 31, v14
	v_cndmask_b32_e32 v2, v12, v2, vcc
	v_cmp_ne_u32_e32 vcc, 0, v0
	v_cndmask_b32_e64 v0, 0, 1, vcc
	v_lshl_or_b32 v0, v0, 9, v12
	v_cmp_eq_u32_e32 vcc, s10, v14
	v_cndmask_b32_e32 v0, v2, v0, vcc
	v_lshrrev_b32_e32 v2, 16, v9
	v_and_or_b32 v0, v2, s11, v0
	v_and_or_b32 v2, v8, s6, v7
	v_cmp_ne_u32_e32 vcc, 0, v2
	v_cndmask_b32_e64 v2, 0, 1, vcc
	v_lshrrev_b32_e32 v4, 8, v8
	v_bfe_u32 v6, v8, 20, 11
	v_and_or_b32 v2, v4, s7, v2
	v_sub_u32_e32 v7, 0x3f1, v6
	v_or_b32_e32 v4, 0x1000, v2
	v_med3_i32 v7, v7, 0, 13
	v_lshrrev_b32_e32 v9, v7, v4
	v_lshlrev_b32_e32 v7, v7, v9
	v_cmp_ne_u32_e32 vcc, v7, v4
	v_cndmask_b32_e64 v4, 0, 1, vcc
	v_or_b32_e32 v4, v9, v4
	v_add_u32_e32 v9, 0xfffffc10, v6
	v_lshl_or_b32 v6, v9, 12, v2
	v_cmp_gt_i32_e32 vcc, 1, v9
	v_cndmask_b32_e32 v4, v6, v4, vcc
	v_and_b32_e32 v6, 7, v4
	v_cmp_lt_i32_e32 vcc, 5, v6
	v_cmp_eq_u32_e64 s[0:1], 3, v6
	ds_read2_b32 v[6:7], v82 offset0:96 offset1:240
	v_lshrrev_b32_e32 v4, 2, v4
	s_or_b64 vcc, s[0:1], vcc
	v_addc_co_u32_e32 v4, vcc, 0, v4, vcc
	s_waitcnt lgkmcnt(0)
	v_lshrrev_b32_e32 v15, 16, v6
	v_mul_f16_sdwa v13, v77, v15 dst_sel:DWORD dst_unused:UNUSED_PAD src0_sel:WORD_1 src1_sel:DWORD
	v_fma_f16 v13, v77, v6, v13
	v_cvt_f32_f16_e32 v13, v13
	v_cmp_gt_i32_e32 vcc, 31, v9
	v_cndmask_b32_e32 v4, v12, v4, vcc
	v_cmp_ne_u32_e32 vcc, 0, v2
	v_cvt_f64_f32_e32 v[13:14], v13
	v_cndmask_b32_e64 v2, 0, 1, vcc
	v_lshl_or_b32 v2, v2, 9, v12
	v_cmp_eq_u32_e32 vcc, s10, v9
	v_cndmask_b32_e32 v2, v4, v2, vcc
	v_lshrrev_b32_e32 v4, 16, v8
	v_mul_f64 v[8:9], v[13:14], s[2:3]
	v_and_or_b32 v2, v4, s11, v2
	v_and_b32_e32 v0, 0xffff, v0
	v_lshl_or_b32 v0, v2, 16, v0
	v_mov_b32_e32 v2, s4
	v_add_co_u32_e32 v10, vcc, s5, v10
	v_addc_co_u32_e32 v11, vcc, v11, v2, vcc
	global_store_dword v[10:11], v0, off
	v_and_or_b32 v0, v9, s6, v8
	v_cmp_ne_u32_e32 vcc, 0, v0
	v_cndmask_b32_e64 v0, 0, 1, vcc
	v_lshrrev_b32_e32 v2, 8, v9
	v_bfe_u32 v4, v9, 20, 11
	v_and_or_b32 v0, v2, s7, v0
	v_sub_u32_e32 v8, 0x3f1, v4
	v_mul_f16_sdwa v6, v77, v6 dst_sel:DWORD dst_unused:UNUSED_PAD src0_sel:WORD_1 src1_sel:DWORD
	v_or_b32_e32 v2, 0x1000, v0
	v_med3_i32 v8, v8, 0, 13
	v_fma_f16 v6, v77, v15, -v6
	v_lshrrev_b32_e32 v13, v8, v2
	v_cvt_f32_f16_e32 v6, v6
	v_lshlrev_b32_e32 v8, v8, v13
	v_cmp_ne_u32_e32 vcc, v8, v2
	v_cndmask_b32_e64 v2, 0, 1, vcc
	v_or_b32_e32 v2, v13, v2
	v_add_u32_e32 v4, 0xfffffc10, v4
	v_cvt_f64_f32_e32 v[13:14], v6
	v_lshl_or_b32 v8, v4, 12, v0
	v_cmp_gt_i32_e32 vcc, 1, v4
	v_cndmask_b32_e32 v2, v8, v2, vcc
	v_and_b32_e32 v8, 7, v2
	v_cmp_lt_i32_e32 vcc, 5, v8
	v_cmp_eq_u32_e64 s[0:1], 3, v8
	v_mul_f64 v[13:14], v[13:14], s[2:3]
	v_lshrrev_b32_e32 v2, 2, v2
	s_or_b64 vcc, s[0:1], vcc
	v_addc_co_u32_e32 v2, vcc, 0, v2, vcc
	v_cmp_gt_i32_e32 vcc, 31, v4
	v_cndmask_b32_e32 v2, v12, v2, vcc
	v_cmp_ne_u32_e32 vcc, 0, v0
	v_cndmask_b32_e64 v0, 0, 1, vcc
	v_lshl_or_b32 v0, v0, 9, v12
	v_cmp_eq_u32_e32 vcc, s10, v4
	v_cndmask_b32_e32 v0, v2, v0, vcc
	v_lshrrev_b32_e32 v2, 16, v9
	v_and_or_b32 v0, v2, s11, v0
	v_and_or_b32 v2, v14, s6, v13
	v_cmp_ne_u32_e32 vcc, 0, v2
	v_cndmask_b32_e64 v2, 0, 1, vcc
	v_lshrrev_b32_e32 v4, 8, v14
	v_bfe_u32 v6, v14, 20, 11
	v_and_or_b32 v2, v4, s7, v2
	v_sub_u32_e32 v8, 0x3f1, v6
	v_or_b32_e32 v4, 0x1000, v2
	v_med3_i32 v8, v8, 0, 13
	v_lshrrev_b32_e32 v9, v8, v4
	v_lshlrev_b32_e32 v8, v8, v9
	v_cmp_ne_u32_e32 vcc, v8, v4
	v_cndmask_b32_e64 v4, 0, 1, vcc
	v_add_u32_e32 v6, 0xfffffc10, v6
	v_or_b32_e32 v4, v9, v4
	v_lshl_or_b32 v8, v6, 12, v2
	v_cmp_gt_i32_e32 vcc, 1, v6
	v_cndmask_b32_e32 v4, v8, v4, vcc
	v_and_b32_e32 v8, 7, v4
	v_cmp_lt_i32_e32 vcc, 5, v8
	v_cmp_eq_u32_e64 s[0:1], 3, v8
	ds_read2_b32 v[8:9], v83 offset0:32 offset1:176
	v_lshrrev_b32_e32 v4, 2, v4
	s_or_b64 vcc, s[0:1], vcc
	v_addc_co_u32_e32 v4, vcc, 0, v4, vcc
	s_waitcnt lgkmcnt(0)
	v_lshrrev_b32_e32 v17, 16, v8
	v_mul_f16_sdwa v13, v76, v17 dst_sel:DWORD dst_unused:UNUSED_PAD src0_sel:WORD_1 src1_sel:DWORD
	v_fma_f16 v13, v76, v8, v13
	v_cvt_f32_f16_e32 v13, v13
	v_cmp_gt_i32_e32 vcc, 31, v6
	v_cndmask_b32_e32 v4, v12, v4, vcc
	v_cmp_ne_u32_e32 vcc, 0, v2
	v_cvt_f64_f32_e32 v[15:16], v13
	v_cndmask_b32_e64 v2, 0, 1, vcc
	v_lshl_or_b32 v2, v2, 9, v12
	v_cmp_eq_u32_e32 vcc, s10, v6
	v_cndmask_b32_e32 v2, v4, v2, vcc
	v_lshrrev_b32_e32 v4, 16, v14
	v_mul_f64 v[13:14], v[15:16], s[2:3]
	v_and_or_b32 v2, v4, s11, v2
	v_and_b32_e32 v0, 0xffff, v0
	v_lshl_or_b32 v0, v2, 16, v0
	v_mov_b32_e32 v2, s4
	v_add_co_u32_e32 v15, vcc, s5, v10
	v_addc_co_u32_e32 v16, vcc, v11, v2, vcc
	global_store_dword v[15:16], v0, off
	v_and_or_b32 v0, v14, s6, v13
	v_cmp_ne_u32_e32 vcc, 0, v0
	v_cndmask_b32_e64 v0, 0, 1, vcc
	v_lshrrev_b32_e32 v2, 8, v14
	v_bfe_u32 v4, v14, 20, 11
	v_and_or_b32 v0, v2, s7, v0
	v_sub_u32_e32 v6, 0x3f1, v4
	v_mul_f16_sdwa v8, v76, v8 dst_sel:DWORD dst_unused:UNUSED_PAD src0_sel:WORD_1 src1_sel:DWORD
	v_or_b32_e32 v2, 0x1000, v0
	v_med3_i32 v6, v6, 0, 13
	v_fma_f16 v8, v76, v17, -v8
	v_lshrrev_b32_e32 v10, v6, v2
	v_cvt_f32_f16_e32 v8, v8
	v_lshlrev_b32_e32 v6, v6, v10
	v_cmp_ne_u32_e32 vcc, v6, v2
	v_cndmask_b32_e64 v2, 0, 1, vcc
	v_or_b32_e32 v2, v10, v2
	v_add_u32_e32 v4, 0xfffffc10, v4
	v_cvt_f64_f32_e32 v[10:11], v8
	v_lshl_or_b32 v6, v4, 12, v0
	v_cmp_gt_i32_e32 vcc, 1, v4
	v_cndmask_b32_e32 v2, v6, v2, vcc
	v_and_b32_e32 v6, 7, v2
	v_cmp_lt_i32_e32 vcc, 5, v6
	v_cmp_eq_u32_e64 s[0:1], 3, v6
	v_mul_f64 v[17:18], v[10:11], s[2:3]
	v_lshrrev_b32_e32 v2, 2, v2
	s_or_b64 vcc, s[0:1], vcc
	v_addc_co_u32_e32 v2, vcc, 0, v2, vcc
	v_cmp_gt_i32_e32 vcc, 31, v4
	v_cndmask_b32_e32 v2, v12, v2, vcc
	v_cmp_ne_u32_e32 vcc, 0, v0
	v_cndmask_b32_e64 v0, 0, 1, vcc
	v_lshl_or_b32 v0, v0, 9, v12
	v_cmp_eq_u32_e32 vcc, s10, v4
	v_cndmask_b32_e32 v0, v2, v0, vcc
	v_lshrrev_b32_e32 v2, 16, v14
	v_and_or_b32 v0, v2, s11, v0
	v_and_or_b32 v2, v18, s6, v17
	v_cmp_ne_u32_e32 vcc, 0, v2
	v_cndmask_b32_e64 v2, 0, 1, vcc
	v_lshrrev_b32_e32 v4, 8, v18
	v_bfe_u32 v6, v18, 20, 11
	v_and_or_b32 v2, v4, s7, v2
	v_sub_u32_e32 v8, 0x3f1, v6
	v_or_b32_e32 v4, 0x1000, v2
	v_med3_i32 v8, v8, 0, 13
	v_lshrrev_b32_e32 v10, v8, v4
	v_lshlrev_b32_e32 v8, v8, v10
	v_cmp_ne_u32_e32 vcc, v8, v4
	v_cndmask_b32_e64 v4, 0, 1, vcc
	v_or_b32_e32 v4, v10, v4
	ds_read2_b32 v[10:11], v81 offset0:96 offset1:240
	v_add_u32_e32 v6, 0xfffffc10, v6
	v_lshl_or_b32 v8, v6, 12, v2
	v_cmp_gt_i32_e32 vcc, 1, v6
	v_cndmask_b32_e32 v4, v8, v4, vcc
	v_and_b32_e32 v8, 7, v4
	v_cmp_lt_i32_e32 vcc, 5, v8
	v_cmp_eq_u32_e64 s[0:1], 3, v8
	s_waitcnt lgkmcnt(0)
	v_lshrrev_b32_e32 v8, 16, v10
	v_mul_f16_sdwa v13, v75, v8 dst_sel:DWORD dst_unused:UNUSED_PAD src0_sel:WORD_1 src1_sel:DWORD
	v_fma_f16 v13, v75, v10, v13
	v_cvt_f32_f16_e32 v13, v13
	v_lshrrev_b32_e32 v4, 2, v4
	s_or_b64 vcc, s[0:1], vcc
	v_addc_co_u32_e32 v4, vcc, 0, v4, vcc
	v_cvt_f64_f32_e32 v[13:14], v13
	v_cmp_gt_i32_e32 vcc, 31, v6
	v_cndmask_b32_e32 v4, v12, v4, vcc
	v_cmp_ne_u32_e32 vcc, 0, v2
	v_mul_f64 v[13:14], v[13:14], s[2:3]
	v_cndmask_b32_e64 v2, 0, 1, vcc
	v_lshl_or_b32 v2, v2, 9, v12
	v_cmp_eq_u32_e32 vcc, s10, v6
	v_cndmask_b32_e32 v2, v4, v2, vcc
	v_lshrrev_b32_e32 v4, 16, v18
	v_and_or_b32 v2, v4, s11, v2
	v_and_b32_e32 v0, 0xffff, v0
	v_lshl_or_b32 v0, v2, 16, v0
	v_mov_b32_e32 v2, s4
	v_add_co_u32_e32 v15, vcc, s5, v15
	v_addc_co_u32_e32 v16, vcc, v16, v2, vcc
	global_store_dword v[15:16], v0, off
	v_and_or_b32 v0, v14, s6, v13
	v_cmp_ne_u32_e32 vcc, 0, v0
	v_cndmask_b32_e64 v0, 0, 1, vcc
	v_lshrrev_b32_e32 v2, 8, v14
	v_bfe_u32 v4, v14, 20, 11
	v_mul_f16_sdwa v10, v75, v10 dst_sel:DWORD dst_unused:UNUSED_PAD src0_sel:WORD_1 src1_sel:DWORD
	v_and_or_b32 v0, v2, s7, v0
	v_sub_u32_e32 v6, 0x3f1, v4
	v_fma_f16 v8, v75, v8, -v10
	v_or_b32_e32 v2, 0x1000, v0
	v_med3_i32 v6, v6, 0, 13
	v_cvt_f32_f16_e32 v8, v8
	v_lshrrev_b32_e32 v13, v6, v2
	v_lshlrev_b32_e32 v6, v6, v13
	v_cmp_ne_u32_e32 vcc, v6, v2
	v_cndmask_b32_e64 v2, 0, 1, vcc
	v_add_u32_e32 v4, 0xfffffc10, v4
	v_cvt_f64_f32_e32 v[17:18], v8
	v_or_b32_e32 v2, v13, v2
	v_lshl_or_b32 v6, v4, 12, v0
	v_cmp_gt_i32_e32 vcc, 1, v4
	v_cndmask_b32_e32 v2, v6, v2, vcc
	v_and_b32_e32 v6, 7, v2
	v_cmp_lt_i32_e32 vcc, 5, v6
	v_cmp_eq_u32_e64 s[0:1], 3, v6
	v_mul_f64 v[17:18], v[17:18], s[2:3]
	v_lshrrev_b32_e32 v2, 2, v2
	s_or_b64 vcc, s[0:1], vcc
	v_addc_co_u32_e32 v2, vcc, 0, v2, vcc
	v_cmp_gt_i32_e32 vcc, 31, v4
	v_cndmask_b32_e32 v2, v12, v2, vcc
	v_cmp_ne_u32_e32 vcc, 0, v0
	v_cndmask_b32_e64 v0, 0, 1, vcc
	v_lshl_or_b32 v0, v0, 9, v12
	v_cmp_eq_u32_e32 vcc, s10, v4
	v_cndmask_b32_e32 v0, v2, v0, vcc
	v_lshrrev_b32_e32 v2, 16, v14
	v_and_or_b32 v0, v2, s11, v0
	v_and_or_b32 v2, v18, s6, v17
	v_cmp_ne_u32_e32 vcc, 0, v2
	v_cndmask_b32_e64 v2, 0, 1, vcc
	v_lshrrev_b32_e32 v4, 8, v18
	v_bfe_u32 v6, v18, 20, 11
	v_and_or_b32 v2, v4, s7, v2
	v_sub_u32_e32 v8, 0x3f1, v6
	v_or_b32_e32 v4, 0x1000, v2
	v_med3_i32 v8, v8, 0, 13
	v_lshrrev_b32_e32 v10, v8, v4
	v_lshlrev_b32_e32 v8, v8, v10
	v_cmp_ne_u32_e32 vcc, v8, v4
	v_cndmask_b32_e64 v4, 0, 1, vcc
	v_add_u32_e32 v6, 0xfffffc10, v6
	v_or_b32_e32 v4, v10, v4
	v_lshl_or_b32 v8, v6, 12, v2
	v_cmp_gt_i32_e32 vcc, 1, v6
	v_cndmask_b32_e32 v4, v8, v4, vcc
	v_and_b32_e32 v8, 7, v4
	v_cmp_lt_i32_e32 vcc, 5, v8
	v_cmp_eq_u32_e64 s[0:1], 3, v8
	v_lshrrev_b32_e32 v8, 16, v1
	v_mul_f16_sdwa v10, v74, v8 dst_sel:DWORD dst_unused:UNUSED_PAD src0_sel:WORD_1 src1_sel:DWORD
	v_fma_f16 v10, v74, v1, v10
	v_cvt_f32_f16_e32 v10, v10
	v_lshrrev_b32_e32 v4, 2, v4
	s_or_b64 vcc, s[0:1], vcc
	v_addc_co_u32_e32 v4, vcc, 0, v4, vcc
	v_cvt_f64_f32_e32 v[13:14], v10
	v_cmp_gt_i32_e32 vcc, 31, v6
	v_cndmask_b32_e32 v4, v12, v4, vcc
	v_cmp_ne_u32_e32 vcc, 0, v2
	v_mul_f64 v[13:14], v[13:14], s[2:3]
	v_cndmask_b32_e64 v2, 0, 1, vcc
	v_lshl_or_b32 v2, v2, 9, v12
	v_cmp_eq_u32_e32 vcc, s10, v6
	v_cndmask_b32_e32 v2, v4, v2, vcc
	v_lshrrev_b32_e32 v4, 16, v18
	v_and_or_b32 v2, v4, s11, v2
	v_and_b32_e32 v0, 0xffff, v0
	v_lshl_or_b32 v0, v2, 16, v0
	v_mov_b32_e32 v2, s4
	v_add_co_u32_e32 v15, vcc, s5, v15
	v_addc_co_u32_e32 v16, vcc, v16, v2, vcc
	global_store_dword v[15:16], v0, off
	v_and_or_b32 v0, v14, s6, v13
	v_cmp_ne_u32_e32 vcc, 0, v0
	v_cndmask_b32_e64 v0, 0, 1, vcc
	v_lshrrev_b32_e32 v2, 8, v14
	v_bfe_u32 v4, v14, 20, 11
	v_and_or_b32 v2, v2, s7, v0
	v_sub_u32_e32 v6, 0x3f1, v4
	v_or_b32_e32 v0, 0x1000, v2
	v_med3_i32 v6, v6, 0, 13
	v_lshrrev_b32_e32 v10, v6, v0
	v_lshlrev_b32_e32 v6, v6, v10
	v_mul_f16_sdwa v1, v74, v1 dst_sel:DWORD dst_unused:UNUSED_PAD src0_sel:WORD_1 src1_sel:DWORD
	v_cmp_ne_u32_e32 vcc, v6, v0
	v_fma_f16 v1, v74, v8, -v1
	v_cndmask_b32_e64 v0, 0, 1, vcc
	v_add_u32_e32 v4, 0xfffffc10, v4
	v_cvt_f32_f16_e32 v1, v1
	v_or_b32_e32 v0, v10, v0
	v_lshl_or_b32 v6, v4, 12, v2
	v_cmp_gt_i32_e32 vcc, 1, v4
	v_cndmask_b32_e32 v0, v6, v0, vcc
	v_and_b32_e32 v6, 7, v0
	v_cmp_lt_i32_e32 vcc, 5, v6
	v_cmp_eq_u32_e64 s[0:1], 3, v6
	v_lshrrev_b32_e32 v6, 2, v0
	v_cvt_f64_f32_e32 v[0:1], v1
	s_or_b64 vcc, s[0:1], vcc
	v_addc_co_u32_e32 v6, vcc, 0, v6, vcc
	v_mul_f64 v[0:1], v[0:1], s[2:3]
	v_cmp_gt_i32_e32 vcc, 31, v4
	v_cndmask_b32_e32 v6, v12, v6, vcc
	v_cmp_ne_u32_e32 vcc, 0, v2
	v_cndmask_b32_e64 v2, 0, 1, vcc
	v_lshl_or_b32 v2, v2, 9, v12
	v_cmp_eq_u32_e32 vcc, s10, v4
	v_cndmask_b32_e32 v2, v6, v2, vcc
	v_and_or_b32 v0, v1, s6, v0
	v_lshrrev_b32_e32 v4, 16, v14
	v_cmp_ne_u32_e32 vcc, 0, v0
	v_and_or_b32 v2, v4, s11, v2
	v_cndmask_b32_e64 v0, 0, 1, vcc
	v_lshrrev_b32_e32 v4, 8, v1
	v_bfe_u32 v6, v1, 20, 11
	v_and_or_b32 v0, v4, s7, v0
	v_sub_u32_e32 v8, 0x3f1, v6
	v_or_b32_e32 v4, 0x1000, v0
	v_med3_i32 v8, v8, 0, 13
	v_lshrrev_b32_e32 v10, v8, v4
	v_lshlrev_b32_e32 v8, v8, v10
	v_cmp_ne_u32_e32 vcc, v8, v4
	v_cndmask_b32_e64 v4, 0, 1, vcc
	v_add_u32_e32 v6, 0xfffffc10, v6
	v_or_b32_e32 v4, v10, v4
	v_lshl_or_b32 v8, v6, 12, v0
	v_cmp_gt_i32_e32 vcc, 1, v6
	v_cndmask_b32_e32 v4, v8, v4, vcc
	v_and_b32_e32 v8, 7, v4
	v_cmp_lt_i32_e32 vcc, 5, v8
	v_cmp_eq_u32_e64 s[0:1], 3, v8
	v_lshrrev_b32_e32 v8, 16, v3
	v_mul_f16_sdwa v10, v72, v8 dst_sel:DWORD dst_unused:UNUSED_PAD src0_sel:WORD_1 src1_sel:DWORD
	v_fma_f16 v10, v72, v3, v10
	v_cvt_f32_f16_e32 v10, v10
	v_lshrrev_b32_e32 v4, 2, v4
	s_or_b64 vcc, s[0:1], vcc
	v_addc_co_u32_e32 v4, vcc, 0, v4, vcc
	v_cmp_gt_i32_e32 vcc, 31, v6
	v_cndmask_b32_e32 v4, v12, v4, vcc
	v_cmp_ne_u32_e32 vcc, 0, v0
	v_cvt_f64_f32_e32 v[13:14], v10
	v_cndmask_b32_e64 v0, 0, 1, vcc
	v_lshl_or_b32 v0, v0, 9, v12
	v_cmp_eq_u32_e32 vcc, s10, v6
	v_cndmask_b32_e32 v0, v4, v0, vcc
	v_lshrrev_b32_e32 v1, 16, v1
	v_and_or_b32 v4, v1, s11, v0
	v_mul_f64 v[0:1], v[13:14], s[2:3]
	v_and_b32_e32 v2, 0xffff, v2
	v_lshl_or_b32 v2, v4, 16, v2
	v_mov_b32_e32 v4, s9
	v_add_co_u32_e32 v13, vcc, s8, v15
	v_addc_co_u32_e32 v14, vcc, v16, v4, vcc
	v_and_or_b32 v0, v1, s6, v0
	v_cmp_ne_u32_e32 vcc, 0, v0
	global_store_dword v[13:14], v2, off
	v_cndmask_b32_e64 v0, 0, 1, vcc
	v_lshrrev_b32_e32 v2, 8, v1
	v_bfe_u32 v4, v1, 20, 11
	v_and_or_b32 v0, v2, s7, v0
	v_sub_u32_e32 v6, 0x3f1, v4
	v_or_b32_e32 v2, 0x1000, v0
	v_med3_i32 v6, v6, 0, 13
	v_lshrrev_b32_e32 v10, v6, v2
	v_lshlrev_b32_e32 v6, v6, v10
	v_mul_f16_sdwa v3, v72, v3 dst_sel:DWORD dst_unused:UNUSED_PAD src0_sel:WORD_1 src1_sel:DWORD
	v_cmp_ne_u32_e32 vcc, v6, v2
	v_fma_f16 v3, v72, v8, -v3
	v_cndmask_b32_e64 v2, 0, 1, vcc
	v_add_u32_e32 v4, 0xfffffc10, v4
	v_cvt_f32_f16_e32 v3, v3
	v_or_b32_e32 v2, v10, v2
	v_lshl_or_b32 v6, v4, 12, v0
	v_cmp_gt_i32_e32 vcc, 1, v4
	v_cndmask_b32_e32 v2, v6, v2, vcc
	v_and_b32_e32 v6, 7, v2
	v_cmp_lt_i32_e32 vcc, 5, v6
	v_cmp_eq_u32_e64 s[0:1], 3, v6
	v_lshrrev_b32_e32 v6, 2, v2
	v_cvt_f64_f32_e32 v[2:3], v3
	s_or_b64 vcc, s[0:1], vcc
	v_addc_co_u32_e32 v6, vcc, 0, v6, vcc
	v_mul_f64 v[2:3], v[2:3], s[2:3]
	v_cmp_gt_i32_e32 vcc, 31, v4
	v_cndmask_b32_e32 v6, v12, v6, vcc
	v_cmp_ne_u32_e32 vcc, 0, v0
	v_cndmask_b32_e64 v0, 0, 1, vcc
	v_lshl_or_b32 v0, v0, 9, v12
	v_cmp_eq_u32_e32 vcc, s10, v4
	v_cndmask_b32_e32 v0, v6, v0, vcc
	v_lshrrev_b32_e32 v1, 16, v1
	v_and_or_b32 v4, v1, s11, v0
	v_and_or_b32 v0, v3, s6, v2
	v_cmp_ne_u32_e32 vcc, 0, v0
	v_cndmask_b32_e64 v0, 0, 1, vcc
	v_lshrrev_b32_e32 v1, 8, v3
	v_bfe_u32 v2, v3, 20, 11
	v_and_or_b32 v0, v1, s7, v0
	v_sub_u32_e32 v6, 0x3f1, v2
	v_or_b32_e32 v1, 0x1000, v0
	v_med3_i32 v6, v6, 0, 13
	v_lshrrev_b32_e32 v8, v6, v1
	v_lshlrev_b32_e32 v6, v6, v8
	v_cmp_ne_u32_e32 vcc, v6, v1
	v_cndmask_b32_e64 v1, 0, 1, vcc
	v_add_u32_e32 v2, 0xfffffc10, v2
	v_or_b32_e32 v1, v8, v1
	v_lshl_or_b32 v6, v2, 12, v0
	v_cmp_gt_i32_e32 vcc, 1, v2
	v_cndmask_b32_e32 v1, v6, v1, vcc
	v_and_b32_e32 v6, 7, v1
	v_cmp_lt_i32_e32 vcc, 5, v6
	v_cmp_eq_u32_e64 s[0:1], 3, v6
	v_lshrrev_b32_e32 v6, 16, v5
	v_lshrrev_b32_e32 v1, 2, v1
	s_or_b64 vcc, s[0:1], vcc
	v_mul_f16_sdwa v8, v73, v6 dst_sel:DWORD dst_unused:UNUSED_PAD src0_sel:WORD_1 src1_sel:DWORD
	v_addc_co_u32_e32 v1, vcc, 0, v1, vcc
	v_fma_f16 v8, v73, v5, v8
	v_cmp_gt_i32_e32 vcc, 31, v2
	v_cvt_f32_f16_e32 v8, v8
	v_cndmask_b32_e32 v1, v12, v1, vcc
	v_cmp_ne_u32_e32 vcc, 0, v0
	v_cndmask_b32_e64 v0, 0, 1, vcc
	v_lshl_or_b32 v0, v0, 9, v12
	v_cmp_eq_u32_e32 vcc, s10, v2
	v_cndmask_b32_e32 v2, v1, v0, vcc
	v_cvt_f64_f32_e32 v[0:1], v8
	v_lshrrev_b32_e32 v3, 16, v3
	v_and_or_b32 v2, v3, s11, v2
	v_and_b32_e32 v3, 0xffff, v4
	v_mul_f64 v[0:1], v[0:1], s[2:3]
	v_lshl_or_b32 v4, v2, 16, v3
	v_mov_b32_e32 v3, s4
	v_add_co_u32_e32 v2, vcc, s5, v13
	v_addc_co_u32_e32 v3, vcc, v14, v3, vcc
	global_store_dword v[2:3], v4, off
	v_and_or_b32 v0, v1, s6, v0
	v_cmp_ne_u32_e32 vcc, 0, v0
	v_cndmask_b32_e64 v0, 0, 1, vcc
	v_lshrrev_b32_e32 v4, 8, v1
	v_bfe_u32 v8, v1, 20, 11
	v_and_or_b32 v0, v4, s7, v0
	v_sub_u32_e32 v10, 0x3f1, v8
	v_or_b32_e32 v4, 0x1000, v0
	v_med3_i32 v10, v10, 0, 13
	v_lshrrev_b32_e32 v13, v10, v4
	v_mul_f16_sdwa v5, v73, v5 dst_sel:DWORD dst_unused:UNUSED_PAD src0_sel:WORD_1 src1_sel:DWORD
	v_lshlrev_b32_e32 v10, v10, v13
	v_fma_f16 v5, v73, v6, -v5
	v_cmp_ne_u32_e32 vcc, v10, v4
	v_cvt_f32_f16_e32 v5, v5
	v_cndmask_b32_e64 v4, 0, 1, vcc
	v_add_u32_e32 v8, 0xfffffc10, v8
	v_or_b32_e32 v4, v13, v4
	v_lshl_or_b32 v10, v8, 12, v0
	v_cmp_gt_i32_e32 vcc, 1, v8
	v_cndmask_b32_e32 v4, v10, v4, vcc
	v_and_b32_e32 v10, 7, v4
	v_lshrrev_b32_e32 v6, 2, v4
	v_cvt_f64_f32_e32 v[4:5], v5
	v_cmp_lt_i32_e32 vcc, 5, v10
	v_cmp_eq_u32_e64 s[0:1], 3, v10
	s_or_b64 vcc, s[0:1], vcc
	v_mul_f64 v[4:5], v[4:5], s[2:3]
	v_addc_co_u32_e32 v6, vcc, 0, v6, vcc
	v_cmp_gt_i32_e32 vcc, 31, v8
	v_cndmask_b32_e32 v6, v12, v6, vcc
	v_cmp_ne_u32_e32 vcc, 0, v0
	v_cndmask_b32_e64 v0, 0, 1, vcc
	v_lshl_or_b32 v0, v0, 9, v12
	v_cmp_eq_u32_e32 vcc, s10, v8
	v_cndmask_b32_e32 v0, v6, v0, vcc
	v_lshrrev_b32_e32 v1, 16, v1
	v_and_or_b32 v6, v1, s11, v0
	v_and_or_b32 v0, v5, s6, v4
	v_cmp_ne_u32_e32 vcc, 0, v0
	v_cndmask_b32_e64 v0, 0, 1, vcc
	v_lshrrev_b32_e32 v1, 8, v5
	v_bfe_u32 v4, v5, 20, 11
	v_and_or_b32 v0, v1, s7, v0
	v_sub_u32_e32 v8, 0x3f1, v4
	v_or_b32_e32 v1, 0x1000, v0
	v_med3_i32 v8, v8, 0, 13
	v_lshrrev_b32_e32 v10, v8, v1
	v_lshlrev_b32_e32 v8, v8, v10
	v_cmp_ne_u32_e32 vcc, v8, v1
	v_cndmask_b32_e64 v1, 0, 1, vcc
	v_add_u32_e32 v4, 0xfffffc10, v4
	v_or_b32_e32 v1, v10, v1
	v_lshl_or_b32 v8, v4, 12, v0
	v_cmp_gt_i32_e32 vcc, 1, v4
	v_cndmask_b32_e32 v1, v8, v1, vcc
	v_and_b32_e32 v8, 7, v1
	v_cmp_lt_i32_e32 vcc, 5, v8
	v_cmp_eq_u32_e64 s[0:1], 3, v8
	v_lshrrev_b32_e32 v8, 16, v7
	v_lshrrev_b32_e32 v1, 2, v1
	s_or_b64 vcc, s[0:1], vcc
	v_mul_f16_sdwa v10, v71, v8 dst_sel:DWORD dst_unused:UNUSED_PAD src0_sel:WORD_1 src1_sel:DWORD
	v_addc_co_u32_e32 v1, vcc, 0, v1, vcc
	v_fma_f16 v10, v71, v7, v10
	v_cmp_gt_i32_e32 vcc, 31, v4
	v_cvt_f32_f16_e32 v10, v10
	v_cndmask_b32_e32 v1, v12, v1, vcc
	v_cmp_ne_u32_e32 vcc, 0, v0
	v_cndmask_b32_e64 v0, 0, 1, vcc
	v_lshl_or_b32 v0, v0, 9, v12
	v_cmp_eq_u32_e32 vcc, s10, v4
	v_cndmask_b32_e32 v4, v1, v0, vcc
	v_cvt_f64_f32_e32 v[0:1], v10
	v_lshrrev_b32_e32 v5, 16, v5
	v_and_or_b32 v4, v5, s11, v4
	v_and_b32_e32 v5, 0xffff, v6
	v_mul_f64 v[0:1], v[0:1], s[2:3]
	v_lshl_or_b32 v4, v4, 16, v5
	v_mov_b32_e32 v5, s4
	v_add_co_u32_e32 v2, vcc, s5, v2
	v_addc_co_u32_e32 v3, vcc, v3, v5, vcc
	global_store_dword v[2:3], v4, off
	v_and_or_b32 v0, v1, s6, v0
	v_cmp_ne_u32_e32 vcc, 0, v0
	v_cndmask_b32_e64 v0, 0, 1, vcc
	v_lshrrev_b32_e32 v4, 8, v1
	v_bfe_u32 v5, v1, 20, 11
	v_and_or_b32 v0, v4, s7, v0
	v_sub_u32_e32 v6, 0x3f1, v5
	v_or_b32_e32 v4, 0x1000, v0
	v_med3_i32 v6, v6, 0, 13
	v_lshrrev_b32_e32 v10, v6, v4
	v_lshlrev_b32_e32 v6, v6, v10
	v_mul_f16_sdwa v7, v71, v7 dst_sel:DWORD dst_unused:UNUSED_PAD src0_sel:WORD_1 src1_sel:DWORD
	v_cmp_ne_u32_e32 vcc, v6, v4
	v_fma_f16 v7, v71, v8, -v7
	v_cndmask_b32_e64 v4, 0, 1, vcc
	v_add_u32_e32 v6, 0xfffffc10, v5
	v_cvt_f32_f16_e32 v7, v7
	v_or_b32_e32 v4, v10, v4
	v_lshl_or_b32 v5, v6, 12, v0
	v_cmp_gt_i32_e32 vcc, 1, v6
	v_cndmask_b32_e32 v4, v5, v4, vcc
	v_and_b32_e32 v5, 7, v4
	v_cmp_lt_i32_e32 vcc, 5, v5
	v_cmp_eq_u32_e64 s[0:1], 3, v5
	v_lshrrev_b32_e32 v8, 2, v4
	v_cvt_f64_f32_e32 v[4:5], v7
	s_or_b64 vcc, s[0:1], vcc
	v_addc_co_u32_e32 v7, vcc, 0, v8, vcc
	v_mul_f64 v[4:5], v[4:5], s[2:3]
	v_cmp_gt_i32_e32 vcc, 31, v6
	v_cndmask_b32_e32 v7, v12, v7, vcc
	v_cmp_ne_u32_e32 vcc, 0, v0
	v_cndmask_b32_e64 v0, 0, 1, vcc
	v_lshl_or_b32 v0, v0, 9, v12
	v_cmp_eq_u32_e32 vcc, s10, v6
	v_cndmask_b32_e32 v0, v7, v0, vcc
	v_lshrrev_b32_e32 v1, 16, v1
	v_and_or_b32 v6, v1, s11, v0
	v_and_or_b32 v0, v5, s6, v4
	v_cmp_ne_u32_e32 vcc, 0, v0
	v_cndmask_b32_e64 v0, 0, 1, vcc
	v_lshrrev_b32_e32 v1, 8, v5
	v_bfe_u32 v4, v5, 20, 11
	v_and_or_b32 v0, v1, s7, v0
	v_sub_u32_e32 v7, 0x3f1, v4
	v_or_b32_e32 v1, 0x1000, v0
	v_med3_i32 v7, v7, 0, 13
	v_lshrrev_b32_e32 v8, v7, v1
	v_lshlrev_b32_e32 v7, v7, v8
	v_cmp_ne_u32_e32 vcc, v7, v1
	v_cndmask_b32_e64 v1, 0, 1, vcc
	v_add_u32_e32 v4, 0xfffffc10, v4
	v_or_b32_e32 v1, v8, v1
	v_lshl_or_b32 v7, v4, 12, v0
	v_cmp_gt_i32_e32 vcc, 1, v4
	v_cndmask_b32_e32 v1, v7, v1, vcc
	v_and_b32_e32 v7, 7, v1
	v_cmp_lt_i32_e32 vcc, 5, v7
	v_cmp_eq_u32_e64 s[0:1], 3, v7
	v_lshrrev_b32_e32 v7, 16, v9
	v_lshrrev_b32_e32 v1, 2, v1
	s_or_b64 vcc, s[0:1], vcc
	v_mul_f16_sdwa v8, v69, v7 dst_sel:DWORD dst_unused:UNUSED_PAD src0_sel:WORD_1 src1_sel:DWORD
	v_addc_co_u32_e32 v1, vcc, 0, v1, vcc
	v_fma_f16 v8, v69, v9, v8
	v_cmp_gt_i32_e32 vcc, 31, v4
	v_cvt_f32_f16_e32 v8, v8
	v_cndmask_b32_e32 v1, v12, v1, vcc
	v_cmp_ne_u32_e32 vcc, 0, v0
	v_cndmask_b32_e64 v0, 0, 1, vcc
	v_lshl_or_b32 v0, v0, 9, v12
	v_cmp_eq_u32_e32 vcc, s10, v4
	v_cndmask_b32_e32 v4, v1, v0, vcc
	v_cvt_f64_f32_e32 v[0:1], v8
	v_lshrrev_b32_e32 v5, 16, v5
	v_and_or_b32 v4, v5, s11, v4
	v_and_b32_e32 v5, 0xffff, v6
	v_mul_f64 v[0:1], v[0:1], s[2:3]
	v_lshl_or_b32 v4, v4, 16, v5
	v_mov_b32_e32 v5, s4
	v_add_co_u32_e32 v2, vcc, s5, v2
	v_addc_co_u32_e32 v3, vcc, v3, v5, vcc
	global_store_dword v[2:3], v4, off
	v_and_or_b32 v0, v1, s6, v0
	v_cmp_ne_u32_e32 vcc, 0, v0
	v_cndmask_b32_e64 v0, 0, 1, vcc
	v_lshrrev_b32_e32 v4, 8, v1
	v_bfe_u32 v5, v1, 20, 11
	v_and_or_b32 v0, v4, s7, v0
	v_sub_u32_e32 v6, 0x3f1, v5
	v_or_b32_e32 v4, 0x1000, v0
	v_med3_i32 v6, v6, 0, 13
	v_lshrrev_b32_e32 v8, v6, v4
	v_lshlrev_b32_e32 v6, v6, v8
	v_cmp_ne_u32_e32 vcc, v6, v4
	v_cndmask_b32_e64 v4, 0, 1, vcc
	v_or_b32_e32 v4, v8, v4
	v_mul_f16_sdwa v8, v69, v9 dst_sel:DWORD dst_unused:UNUSED_PAD src0_sel:WORD_1 src1_sel:DWORD
	v_fma_f16 v7, v69, v7, -v8
	v_add_u32_e32 v6, 0xfffffc10, v5
	v_cvt_f32_f16_e32 v7, v7
	v_lshl_or_b32 v5, v6, 12, v0
	v_cmp_gt_i32_e32 vcc, 1, v6
	v_cndmask_b32_e32 v4, v5, v4, vcc
	v_and_b32_e32 v5, 7, v4
	v_cmp_lt_i32_e32 vcc, 5, v5
	v_cmp_eq_u32_e64 s[0:1], 3, v5
	v_lshrrev_b32_e32 v8, 2, v4
	v_cvt_f64_f32_e32 v[4:5], v7
	s_or_b64 vcc, s[0:1], vcc
	v_addc_co_u32_e32 v7, vcc, 0, v8, vcc
	v_mul_f64 v[4:5], v[4:5], s[2:3]
	v_cmp_gt_i32_e32 vcc, 31, v6
	v_cndmask_b32_e32 v7, v12, v7, vcc
	v_cmp_ne_u32_e32 vcc, 0, v0
	v_cndmask_b32_e64 v0, 0, 1, vcc
	v_lshl_or_b32 v0, v0, 9, v12
	v_cmp_eq_u32_e32 vcc, s10, v6
	v_cndmask_b32_e32 v0, v7, v0, vcc
	v_lshrrev_b32_e32 v1, 16, v1
	v_and_or_b32 v6, v1, s11, v0
	v_and_or_b32 v0, v5, s6, v4
	v_cmp_ne_u32_e32 vcc, 0, v0
	v_cndmask_b32_e64 v0, 0, 1, vcc
	v_lshrrev_b32_e32 v1, 8, v5
	v_bfe_u32 v4, v5, 20, 11
	v_and_or_b32 v0, v1, s7, v0
	v_sub_u32_e32 v7, 0x3f1, v4
	v_or_b32_e32 v1, 0x1000, v0
	v_med3_i32 v7, v7, 0, 13
	v_lshrrev_b32_e32 v8, v7, v1
	v_lshlrev_b32_e32 v7, v7, v8
	v_cmp_ne_u32_e32 vcc, v7, v1
	v_cndmask_b32_e64 v1, 0, 1, vcc
	v_add_u32_e32 v4, 0xfffffc10, v4
	v_or_b32_e32 v1, v8, v1
	v_lshl_or_b32 v7, v4, 12, v0
	v_cmp_gt_i32_e32 vcc, 1, v4
	v_cndmask_b32_e32 v1, v7, v1, vcc
	v_and_b32_e32 v7, 7, v1
	v_cmp_lt_i32_e32 vcc, 5, v7
	v_cmp_eq_u32_e64 s[0:1], 3, v7
	v_lshrrev_b32_e32 v7, 16, v11
	v_lshrrev_b32_e32 v1, 2, v1
	s_or_b64 vcc, s[0:1], vcc
	v_mul_f16_sdwa v8, v70, v7 dst_sel:DWORD dst_unused:UNUSED_PAD src0_sel:WORD_1 src1_sel:DWORD
	v_addc_co_u32_e32 v1, vcc, 0, v1, vcc
	v_fma_f16 v8, v70, v11, v8
	v_cmp_gt_i32_e32 vcc, 31, v4
	v_cvt_f32_f16_e32 v8, v8
	v_cndmask_b32_e32 v1, v12, v1, vcc
	v_cmp_ne_u32_e32 vcc, 0, v0
	v_cndmask_b32_e64 v0, 0, 1, vcc
	v_lshl_or_b32 v0, v0, 9, v12
	v_cmp_eq_u32_e32 vcc, s10, v4
	v_cndmask_b32_e32 v4, v1, v0, vcc
	v_cvt_f64_f32_e32 v[0:1], v8
	v_lshrrev_b32_e32 v5, 16, v5
	v_and_or_b32 v4, v5, s11, v4
	v_and_b32_e32 v5, 0xffff, v6
	v_mul_f64 v[0:1], v[0:1], s[2:3]
	v_lshl_or_b32 v4, v4, 16, v5
	v_mov_b32_e32 v5, s4
	v_add_co_u32_e32 v2, vcc, s5, v2
	v_addc_co_u32_e32 v3, vcc, v3, v5, vcc
	global_store_dword v[2:3], v4, off
	v_and_or_b32 v0, v1, s6, v0
	v_cmp_ne_u32_e32 vcc, 0, v0
	v_cndmask_b32_e64 v0, 0, 1, vcc
	v_lshrrev_b32_e32 v4, 8, v1
	v_bfe_u32 v5, v1, 20, 11
	v_and_or_b32 v0, v4, s7, v0
	v_sub_u32_e32 v6, 0x3f1, v5
	v_or_b32_e32 v4, 0x1000, v0
	v_med3_i32 v6, v6, 0, 13
	v_lshrrev_b32_e32 v8, v6, v4
	v_lshlrev_b32_e32 v6, v6, v8
	v_cmp_ne_u32_e32 vcc, v6, v4
	v_cndmask_b32_e64 v4, 0, 1, vcc
	v_or_b32_e32 v4, v8, v4
	v_mul_f16_sdwa v8, v70, v11 dst_sel:DWORD dst_unused:UNUSED_PAD src0_sel:WORD_1 src1_sel:DWORD
	v_fma_f16 v7, v70, v7, -v8
	v_add_u32_e32 v6, 0xfffffc10, v5
	v_cvt_f32_f16_e32 v7, v7
	v_lshl_or_b32 v5, v6, 12, v0
	v_cmp_gt_i32_e32 vcc, 1, v6
	v_cndmask_b32_e32 v4, v5, v4, vcc
	v_and_b32_e32 v5, 7, v4
	v_cmp_lt_i32_e32 vcc, 5, v5
	v_cmp_eq_u32_e64 s[0:1], 3, v5
	v_lshrrev_b32_e32 v8, 2, v4
	v_cvt_f64_f32_e32 v[4:5], v7
	s_or_b64 vcc, s[0:1], vcc
	v_addc_co_u32_e32 v7, vcc, 0, v8, vcc
	v_mul_f64 v[4:5], v[4:5], s[2:3]
	v_cmp_gt_i32_e32 vcc, 31, v6
	v_cndmask_b32_e32 v7, v12, v7, vcc
	v_cmp_ne_u32_e32 vcc, 0, v0
	v_cndmask_b32_e64 v0, 0, 1, vcc
	v_lshl_or_b32 v0, v0, 9, v12
	v_cmp_eq_u32_e32 vcc, s10, v6
	v_cndmask_b32_e32 v0, v7, v0, vcc
	v_lshrrev_b32_e32 v1, 16, v1
	v_and_or_b32 v0, v1, s11, v0
	v_and_or_b32 v1, v5, s6, v4
	v_cmp_ne_u32_e32 vcc, 0, v1
	v_cndmask_b32_e64 v1, 0, 1, vcc
	v_lshrrev_b32_e32 v4, 8, v5
	v_bfe_u32 v6, v5, 20, 11
	v_and_or_b32 v1, v4, s7, v1
	v_sub_u32_e32 v7, 0x3f1, v6
	v_or_b32_e32 v4, 0x1000, v1
	v_med3_i32 v7, v7, 0, 13
	v_lshrrev_b32_e32 v8, v7, v4
	v_lshlrev_b32_e32 v7, v7, v8
	v_cmp_ne_u32_e32 vcc, v7, v4
	v_cndmask_b32_e64 v4, 0, 1, vcc
	v_add_u32_e32 v6, 0xfffffc10, v6
	v_or_b32_e32 v4, v8, v4
	v_lshl_or_b32 v7, v6, 12, v1
	v_cmp_gt_i32_e32 vcc, 1, v6
	v_cndmask_b32_e32 v4, v7, v4, vcc
	v_and_b32_e32 v7, 7, v4
	v_cmp_lt_i32_e32 vcc, 5, v7
	v_cmp_eq_u32_e64 s[0:1], 3, v7
	v_lshrrev_b32_e32 v4, 2, v4
	s_or_b64 vcc, s[0:1], vcc
	v_addc_co_u32_e32 v4, vcc, 0, v4, vcc
	v_cmp_gt_i32_e32 vcc, 31, v6
	v_cndmask_b32_e32 v4, v12, v4, vcc
	v_cmp_ne_u32_e32 vcc, 0, v1
	v_cndmask_b32_e64 v1, 0, 1, vcc
	v_lshl_or_b32 v1, v1, 9, v12
	v_cmp_eq_u32_e32 vcc, s10, v6
	v_cndmask_b32_e32 v1, v4, v1, vcc
	v_lshrrev_b32_e32 v4, 16, v5
	v_and_or_b32 v1, v4, s11, v1
	v_and_b32_e32 v0, 0xffff, v0
	v_lshl_or_b32 v4, v1, 16, v0
	v_mov_b32_e32 v1, s4
	v_add_co_u32_e32 v0, vcc, s5, v2
	v_addc_co_u32_e32 v1, vcc, v3, v1, vcc
	global_store_dword v[0:1], v4, off
.LBB0_2:
	s_endpgm
	.section	.rodata,"a",@progbits
	.p2align	6, 0x0
	.amdhsa_kernel bluestein_single_fwd_len3456_dim1_half_op_CI_CI
		.amdhsa_group_segment_fixed_size 13824
		.amdhsa_private_segment_fixed_size 0
		.amdhsa_kernarg_size 104
		.amdhsa_user_sgpr_count 6
		.amdhsa_user_sgpr_private_segment_buffer 1
		.amdhsa_user_sgpr_dispatch_ptr 0
		.amdhsa_user_sgpr_queue_ptr 0
		.amdhsa_user_sgpr_kernarg_segment_ptr 1
		.amdhsa_user_sgpr_dispatch_id 0
		.amdhsa_user_sgpr_flat_scratch_init 0
		.amdhsa_user_sgpr_private_segment_size 0
		.amdhsa_uses_dynamic_stack 0
		.amdhsa_system_sgpr_private_segment_wavefront_offset 0
		.amdhsa_system_sgpr_workgroup_id_x 1
		.amdhsa_system_sgpr_workgroup_id_y 0
		.amdhsa_system_sgpr_workgroup_id_z 0
		.amdhsa_system_sgpr_workgroup_info 0
		.amdhsa_system_vgpr_workitem_id 0
		.amdhsa_next_free_vgpr 175
		.amdhsa_next_free_sgpr 20
		.amdhsa_reserve_vcc 1
		.amdhsa_reserve_flat_scratch 0
		.amdhsa_float_round_mode_32 0
		.amdhsa_float_round_mode_16_64 0
		.amdhsa_float_denorm_mode_32 3
		.amdhsa_float_denorm_mode_16_64 3
		.amdhsa_dx10_clamp 1
		.amdhsa_ieee_mode 1
		.amdhsa_fp16_overflow 0
		.amdhsa_exception_fp_ieee_invalid_op 0
		.amdhsa_exception_fp_denorm_src 0
		.amdhsa_exception_fp_ieee_div_zero 0
		.amdhsa_exception_fp_ieee_overflow 0
		.amdhsa_exception_fp_ieee_underflow 0
		.amdhsa_exception_fp_ieee_inexact 0
		.amdhsa_exception_int_div_zero 0
	.end_amdhsa_kernel
	.text
.Lfunc_end0:
	.size	bluestein_single_fwd_len3456_dim1_half_op_CI_CI, .Lfunc_end0-bluestein_single_fwd_len3456_dim1_half_op_CI_CI
                                        ; -- End function
	.section	.AMDGPU.csdata,"",@progbits
; Kernel info:
; codeLenInByte = 35620
; NumSgprs: 24
; NumVgprs: 175
; ScratchSize: 0
; MemoryBound: 0
; FloatMode: 240
; IeeeMode: 1
; LDSByteSize: 13824 bytes/workgroup (compile time only)
; SGPRBlocks: 2
; VGPRBlocks: 43
; NumSGPRsForWavesPerEU: 24
; NumVGPRsForWavesPerEU: 175
; Occupancy: 1
; WaveLimiterHint : 1
; COMPUTE_PGM_RSRC2:SCRATCH_EN: 0
; COMPUTE_PGM_RSRC2:USER_SGPR: 6
; COMPUTE_PGM_RSRC2:TRAP_HANDLER: 0
; COMPUTE_PGM_RSRC2:TGID_X_EN: 1
; COMPUTE_PGM_RSRC2:TGID_Y_EN: 0
; COMPUTE_PGM_RSRC2:TGID_Z_EN: 0
; COMPUTE_PGM_RSRC2:TIDIG_COMP_CNT: 0
	.type	__hip_cuid_ebd7f1705f1812c6,@object ; @__hip_cuid_ebd7f1705f1812c6
	.section	.bss,"aw",@nobits
	.globl	__hip_cuid_ebd7f1705f1812c6
__hip_cuid_ebd7f1705f1812c6:
	.byte	0                               ; 0x0
	.size	__hip_cuid_ebd7f1705f1812c6, 1

	.ident	"AMD clang version 19.0.0git (https://github.com/RadeonOpenCompute/llvm-project roc-6.4.0 25133 c7fe45cf4b819c5991fe208aaa96edf142730f1d)"
	.section	".note.GNU-stack","",@progbits
	.addrsig
	.addrsig_sym __hip_cuid_ebd7f1705f1812c6
	.amdgpu_metadata
---
amdhsa.kernels:
  - .args:
      - .actual_access:  read_only
        .address_space:  global
        .offset:         0
        .size:           8
        .value_kind:     global_buffer
      - .actual_access:  read_only
        .address_space:  global
        .offset:         8
        .size:           8
        .value_kind:     global_buffer
      - .actual_access:  read_only
        .address_space:  global
        .offset:         16
        .size:           8
        .value_kind:     global_buffer
      - .actual_access:  read_only
        .address_space:  global
        .offset:         24
        .size:           8
        .value_kind:     global_buffer
      - .actual_access:  read_only
        .address_space:  global
        .offset:         32
        .size:           8
        .value_kind:     global_buffer
      - .offset:         40
        .size:           8
        .value_kind:     by_value
      - .address_space:  global
        .offset:         48
        .size:           8
        .value_kind:     global_buffer
      - .address_space:  global
        .offset:         56
        .size:           8
        .value_kind:     global_buffer
      - .address_space:  global
        .offset:         64
        .size:           8
        .value_kind:     global_buffer
      - .address_space:  global
        .offset:         72
        .size:           8
        .value_kind:     global_buffer
      - .offset:         80
        .size:           4
        .value_kind:     by_value
      - .address_space:  global
        .offset:         88
        .size:           8
        .value_kind:     global_buffer
      - .address_space:  global
        .offset:         96
        .size:           8
        .value_kind:     global_buffer
    .group_segment_fixed_size: 13824
    .kernarg_segment_align: 8
    .kernarg_segment_size: 104
    .language:       OpenCL C
    .language_version:
      - 2
      - 0
    .max_flat_workgroup_size: 144
    .name:           bluestein_single_fwd_len3456_dim1_half_op_CI_CI
    .private_segment_fixed_size: 0
    .sgpr_count:     24
    .sgpr_spill_count: 0
    .symbol:         bluestein_single_fwd_len3456_dim1_half_op_CI_CI.kd
    .uniform_work_group_size: 1
    .uses_dynamic_stack: false
    .vgpr_count:     175
    .vgpr_spill_count: 0
    .wavefront_size: 64
amdhsa.target:   amdgcn-amd-amdhsa--gfx906
amdhsa.version:
  - 1
  - 2
...

	.end_amdgpu_metadata
